;; amdgpu-corpus repo=zjin-lcf/HeCBench kind=compiled arch=gfx906 opt=O3
	.amdgcn_target "amdgcn-amd-amdhsa--gfx906"
	.amdhsa_code_object_version 6
	.text
	.protected	_Z17copy_to_fft_inputPVfPKfiii ; -- Begin function _Z17copy_to_fft_inputPVfPKfiii
	.globl	_Z17copy_to_fft_inputPVfPKfiii
	.p2align	8
	.type	_Z17copy_to_fft_inputPVfPKfiii,@function
_Z17copy_to_fft_inputPVfPKfiii:         ; @_Z17copy_to_fft_inputPVfPKfiii
; %bb.0:
	s_load_dword s7, s[4:5], 0x2c
	s_load_dwordx4 s[0:3], s[4:5], 0x10
	s_waitcnt lgkmcnt(0)
	s_and_b32 s7, s7, 0xffff
	s_mul_i32 s3, s1, s1
	s_mul_i32 s6, s6, s7
	v_add_u32_e32 v0, s6, v0
	s_mul_i32 s6, s3, s2
	v_cmp_gt_i32_e32 vcc, s6, v0
	s_and_saveexec_b64 s[6:7], vcc
	s_cbranch_execz .LBB0_2
; %bb.1:
	s_abs_i32 s6, s3
	v_cvt_f32_u32_e32 v1, s6
	s_sub_i32 s7, 0, s6
	v_sub_u32_e32 v3, 0, v0
	v_max_i32_e32 v3, v0, v3
	v_rcp_iflag_f32_e32 v1, v1
	v_xor_b32_e32 v4, s3, v0
	v_ashrrev_i32_e32 v4, 31, v4
	v_mul_f32_e32 v1, 0x4f7ffffe, v1
	v_cvt_u32_f32_e32 v1, v1
	v_mul_lo_u32 v2, s7, v1
	v_mul_hi_u32 v2, v1, v2
	v_add_u32_e32 v1, v1, v2
	v_mul_hi_u32 v1, v3, v1
	v_mul_lo_u32 v2, v1, s6
	v_add_u32_e32 v5, 1, v1
	v_sub_u32_e32 v2, v3, v2
	v_cmp_le_u32_e32 vcc, s6, v2
	v_subrev_u32_e32 v3, s6, v2
	v_cndmask_b32_e32 v1, v1, v5, vcc
	v_cndmask_b32_e32 v2, v2, v3, vcc
	v_add_u32_e32 v3, 1, v1
	v_cmp_le_u32_e32 vcc, s6, v2
	v_cndmask_b32_e32 v1, v1, v3, vcc
	v_xor_b32_e32 v1, v1, v4
	v_sub_u32_e32 v1, v1, v4
	v_mul_lo_u32 v2, v1, s3
	s_load_dwordx4 s[4:7], s[4:5], 0x0
	v_sub_u32_e32 v4, v0, v2
	v_mad_u64_u32 v[2:3], s[2:3], v4, s2, v[1:2]
	s_waitcnt lgkmcnt(0)
	v_mov_b32_e32 v0, s7
	s_abs_i32 s2, s1
	v_ashrrev_i32_e32 v3, 31, v2
	v_lshlrev_b64 v[2:3], 2, v[2:3]
	s_sub_i32 s3, 0, s2
	v_add_co_u32_e32 v2, vcc, s6, v2
	v_addc_co_u32_e32 v3, vcc, v0, v3, vcc
	global_load_dword v2, v[2:3], off
	v_cvt_f32_u32_e32 v0, s2
	v_sub_u32_e32 v5, 0, v4
	v_max_i32_e32 v5, v4, v5
	v_xor_b32_e32 v6, s1, v4
	v_rcp_iflag_f32_e32 v0, v0
	v_ashrrev_i32_e32 v6, 31, v6
	v_mul_f32_e32 v0, 0x4f7ffffe, v0
	v_cvt_u32_f32_e32 v0, v0
	v_mul_lo_u32 v3, s3, v0
	v_mul_hi_u32 v3, v0, v3
	v_add_u32_e32 v0, v0, v3
	v_mul_hi_u32 v0, v5, v0
	v_mul_lo_u32 v3, v0, s2
	v_sub_u32_e32 v3, v5, v3
	v_add_u32_e32 v5, 1, v0
	v_cmp_le_u32_e32 vcc, s2, v3
	v_cndmask_b32_e32 v0, v0, v5, vcc
	v_subrev_u32_e32 v5, s2, v3
	v_cndmask_b32_e32 v3, v3, v5, vcc
	v_add_u32_e32 v5, 1, v0
	v_cmp_le_u32_e32 vcc, s2, v3
	v_cndmask_b32_e32 v0, v0, v5, vcc
	v_xor_b32_e32 v0, v0, v6
	v_sub_u32_e32 v0, v0, v6
	v_mul_lo_u32 v3, v0, s1
	v_mad_u64_u32 v[0:1], s[2:3], v1, s0, v[0:1]
	v_sub_u32_e32 v1, v4, v3
	v_mov_b32_e32 v3, s5
	s_waitcnt vmcnt(0)
	v_mad_u64_u32 v[0:1], s[0:1], v0, s0, v[1:2]
	v_ashrrev_i32_e32 v1, 31, v0
	v_lshlrev_b64 v[0:1], 2, v[0:1]
	v_add_co_u32_e32 v0, vcc, s4, v0
	v_addc_co_u32_e32 v1, vcc, v3, v1, vcc
	flat_store_dword v[0:1], v2
	s_waitcnt vmcnt(0)
.LBB0_2:
	s_endpgm
	.section	.rodata,"a",@progbits
	.p2align	6, 0x0
	.amdhsa_kernel _Z17copy_to_fft_inputPVfPKfiii
		.amdhsa_group_segment_fixed_size 0
		.amdhsa_private_segment_fixed_size 0
		.amdhsa_kernarg_size 288
		.amdhsa_user_sgpr_count 6
		.amdhsa_user_sgpr_private_segment_buffer 1
		.amdhsa_user_sgpr_dispatch_ptr 0
		.amdhsa_user_sgpr_queue_ptr 0
		.amdhsa_user_sgpr_kernarg_segment_ptr 1
		.amdhsa_user_sgpr_dispatch_id 0
		.amdhsa_user_sgpr_flat_scratch_init 0
		.amdhsa_user_sgpr_private_segment_size 0
		.amdhsa_uses_dynamic_stack 0
		.amdhsa_system_sgpr_private_segment_wavefront_offset 0
		.amdhsa_system_sgpr_workgroup_id_x 1
		.amdhsa_system_sgpr_workgroup_id_y 0
		.amdhsa_system_sgpr_workgroup_id_z 0
		.amdhsa_system_sgpr_workgroup_info 0
		.amdhsa_system_vgpr_workitem_id 0
		.amdhsa_next_free_vgpr 7
		.amdhsa_next_free_sgpr 8
		.amdhsa_reserve_vcc 1
		.amdhsa_reserve_flat_scratch 0
		.amdhsa_float_round_mode_32 0
		.amdhsa_float_round_mode_16_64 0
		.amdhsa_float_denorm_mode_32 3
		.amdhsa_float_denorm_mode_16_64 3
		.amdhsa_dx10_clamp 1
		.amdhsa_ieee_mode 1
		.amdhsa_fp16_overflow 0
		.amdhsa_exception_fp_ieee_invalid_op 0
		.amdhsa_exception_fp_denorm_src 0
		.amdhsa_exception_fp_ieee_div_zero 0
		.amdhsa_exception_fp_ieee_overflow 0
		.amdhsa_exception_fp_ieee_underflow 0
		.amdhsa_exception_fp_ieee_inexact 0
		.amdhsa_exception_int_div_zero 0
	.end_amdhsa_kernel
	.text
.Lfunc_end0:
	.size	_Z17copy_to_fft_inputPVfPKfiii, .Lfunc_end0-_Z17copy_to_fft_inputPVfPKfiii
                                        ; -- End function
	.set _Z17copy_to_fft_inputPVfPKfiii.num_vgpr, 7
	.set _Z17copy_to_fft_inputPVfPKfiii.num_agpr, 0
	.set _Z17copy_to_fft_inputPVfPKfiii.numbered_sgpr, 8
	.set _Z17copy_to_fft_inputPVfPKfiii.num_named_barrier, 0
	.set _Z17copy_to_fft_inputPVfPKfiii.private_seg_size, 0
	.set _Z17copy_to_fft_inputPVfPKfiii.uses_vcc, 1
	.set _Z17copy_to_fft_inputPVfPKfiii.uses_flat_scratch, 0
	.set _Z17copy_to_fft_inputPVfPKfiii.has_dyn_sized_stack, 0
	.set _Z17copy_to_fft_inputPVfPKfiii.has_recursion, 0
	.set _Z17copy_to_fft_inputPVfPKfiii.has_indirect_call, 0
	.section	.AMDGPU.csdata,"",@progbits
; Kernel info:
; codeLenInByte = 440
; TotalNumSgprs: 12
; NumVgprs: 7
; ScratchSize: 0
; MemoryBound: 0
; FloatMode: 240
; IeeeMode: 1
; LDSByteSize: 0 bytes/workgroup (compile time only)
; SGPRBlocks: 1
; VGPRBlocks: 1
; NumSGPRsForWavesPerEU: 12
; NumVGPRsForWavesPerEU: 7
; Occupancy: 10
; WaveLimiterHint : 0
; COMPUTE_PGM_RSRC2:SCRATCH_EN: 0
; COMPUTE_PGM_RSRC2:USER_SGPR: 6
; COMPUTE_PGM_RSRC2:TRAP_HANDLER: 0
; COMPUTE_PGM_RSRC2:TGID_X_EN: 1
; COMPUTE_PGM_RSRC2:TGID_Y_EN: 0
; COMPUTE_PGM_RSRC2:TGID_Z_EN: 0
; COMPUTE_PGM_RSRC2:TIDIG_COMP_CNT: 0
	.text
	.protected	_Z20copy_from_fft_outputPVfPKfiii ; -- Begin function _Z20copy_from_fft_outputPVfPKfiii
	.globl	_Z20copy_from_fft_outputPVfPKfiii
	.p2align	8
	.type	_Z20copy_from_fft_outputPVfPKfiii,@function
_Z20copy_from_fft_outputPVfPKfiii:      ; @_Z20copy_from_fft_outputPVfPKfiii
; %bb.0:
	s_load_dword s7, s[4:5], 0x2c
	s_load_dwordx4 s[0:3], s[4:5], 0x10
	s_waitcnt lgkmcnt(0)
	s_and_b32 s7, s7, 0xffff
	s_mul_i32 s3, s1, s1
	s_mul_i32 s6, s6, s7
	v_add_u32_e32 v0, s6, v0
	s_mul_i32 s6, s3, s2
	v_cmp_gt_i32_e32 vcc, s6, v0
	s_and_saveexec_b64 s[6:7], vcc
	s_cbranch_execz .LBB1_2
; %bb.1:
	s_abs_i32 s6, s3
	v_cvt_f32_u32_e32 v1, s6
	s_sub_i32 s7, 0, s6
	s_abs_i32 s8, s1
	v_sub_u32_e32 v4, 0, v0
	v_rcp_iflag_f32_e32 v1, v1
	v_cvt_f32_u32_e32 v2, s8
	v_max_i32_e32 v4, v0, v4
	v_xor_b32_e32 v5, s3, v0
	v_mul_f32_e32 v1, 0x4f7ffffe, v1
	v_cvt_u32_f32_e32 v1, v1
	v_rcp_iflag_f32_e32 v2, v2
	v_ashrrev_i32_e32 v5, 31, v5
	v_mul_lo_u32 v3, s7, v1
	v_mul_f32_e32 v2, 0x4f7ffffe, v2
	v_cvt_u32_f32_e32 v2, v2
	s_sub_i32 s7, 0, s8
	v_mul_hi_u32 v3, v1, v3
	v_add_u32_e32 v1, v1, v3
	v_mul_hi_u32 v1, v4, v1
	v_mul_lo_u32 v3, s7, v2
	v_mul_lo_u32 v6, v1, s6
	v_add_u32_e32 v7, 1, v1
	v_mul_hi_u32 v3, v2, v3
	v_sub_u32_e32 v4, v4, v6
	v_cmp_le_u32_e32 vcc, s6, v4
	v_subrev_u32_e32 v6, s6, v4
	v_cndmask_b32_e32 v1, v1, v7, vcc
	v_cndmask_b32_e32 v4, v4, v6, vcc
	v_add_u32_e32 v6, 1, v1
	v_cmp_le_u32_e32 vcc, s6, v4
	v_cndmask_b32_e32 v1, v1, v6, vcc
	v_xor_b32_e32 v1, v1, v5
	v_sub_u32_e32 v1, v1, v5
	v_mul_lo_u32 v4, v1, s3
	v_add_u32_e32 v2, v2, v3
	s_mul_i32 s3, s0, s0
	s_load_dwordx4 s[4:7], s[4:5], 0x0
	v_sub_u32_e32 v0, v0, v4
	v_sub_u32_e32 v3, 0, v0
	v_max_i32_e32 v3, v0, v3
	v_mul_hi_u32 v2, v3, v2
	v_xor_b32_e32 v6, s1, v0
	v_ashrrev_i32_e32 v6, 31, v6
	v_mul_lo_u32 v4, v1, s3
	v_mul_lo_u32 v5, v2, s8
	v_add_u32_e32 v7, 1, v2
	v_add_u32_e32 v4, s1, v4
	v_sub_u32_e32 v3, v3, v5
	v_cmp_le_u32_e32 vcc, s8, v3
	v_subrev_u32_e32 v5, s8, v3
	v_cndmask_b32_e32 v2, v2, v7, vcc
	v_cndmask_b32_e32 v3, v3, v5, vcc
	v_add_u32_e32 v5, 1, v2
	v_cmp_le_u32_e32 vcc, s8, v3
	v_cndmask_b32_e32 v2, v2, v5, vcc
	v_xor_b32_e32 v2, v2, v6
	v_sub_u32_e32 v2, v2, v6
	v_add_u32_e32 v3, s1, v2
	v_mul_lo_u32 v2, v2, s1
	v_mul_lo_u32 v3, v3, s0
	s_waitcnt lgkmcnt(0)
	v_mov_b32_e32 v5, s7
	v_sub_u32_e32 v2, v0, v2
	v_add3_u32 v2, v4, v2, v3
	v_ashrrev_i32_e32 v3, 31, v2
	v_lshlrev_b64 v[2:3], 2, v[2:3]
	v_add_co_u32_e32 v2, vcc, s6, v2
	v_addc_co_u32_e32 v3, vcc, v5, v3, vcc
	global_load_dword v2, v[2:3], off
	v_cvt_f32_u32_e32 v3, s3
	s_waitcnt vmcnt(0)
	v_div_scale_f32 v4, s[0:1], v3, v3, v2
	v_div_scale_f32 v5, vcc, v2, v3, v2
	v_mad_u64_u32 v[0:1], s[0:1], v0, s2, v[1:2]
	v_ashrrev_i32_e32 v1, 31, v0
	v_lshlrev_b64 v[0:1], 2, v[0:1]
	v_rcp_f32_e32 v6, v4
	v_fma_f32 v7, -v4, v6, 1.0
	v_fmac_f32_e32 v6, v7, v6
	v_mul_f32_e32 v7, v5, v6
	v_fma_f32 v8, -v4, v7, v5
	v_fmac_f32_e32 v7, v8, v6
	v_fma_f32 v4, -v4, v7, v5
	v_div_fmas_f32 v4, v4, v6, v7
	v_mov_b32_e32 v5, s5
	v_add_co_u32_e32 v0, vcc, s4, v0
	v_addc_co_u32_e32 v1, vcc, v5, v1, vcc
	v_div_fixup_f32 v2, v4, v3, v2
	flat_store_dword v[0:1], v2
	s_waitcnt vmcnt(0)
.LBB1_2:
	s_endpgm
	.section	.rodata,"a",@progbits
	.p2align	6, 0x0
	.amdhsa_kernel _Z20copy_from_fft_outputPVfPKfiii
		.amdhsa_group_segment_fixed_size 0
		.amdhsa_private_segment_fixed_size 0
		.amdhsa_kernarg_size 288
		.amdhsa_user_sgpr_count 6
		.amdhsa_user_sgpr_private_segment_buffer 1
		.amdhsa_user_sgpr_dispatch_ptr 0
		.amdhsa_user_sgpr_queue_ptr 0
		.amdhsa_user_sgpr_kernarg_segment_ptr 1
		.amdhsa_user_sgpr_dispatch_id 0
		.amdhsa_user_sgpr_flat_scratch_init 0
		.amdhsa_user_sgpr_private_segment_size 0
		.amdhsa_uses_dynamic_stack 0
		.amdhsa_system_sgpr_private_segment_wavefront_offset 0
		.amdhsa_system_sgpr_workgroup_id_x 1
		.amdhsa_system_sgpr_workgroup_id_y 0
		.amdhsa_system_sgpr_workgroup_id_z 0
		.amdhsa_system_sgpr_workgroup_info 0
		.amdhsa_system_vgpr_workitem_id 0
		.amdhsa_next_free_vgpr 9
		.amdhsa_next_free_sgpr 9
		.amdhsa_reserve_vcc 1
		.amdhsa_reserve_flat_scratch 0
		.amdhsa_float_round_mode_32 0
		.amdhsa_float_round_mode_16_64 0
		.amdhsa_float_denorm_mode_32 3
		.amdhsa_float_denorm_mode_16_64 3
		.amdhsa_dx10_clamp 1
		.amdhsa_ieee_mode 1
		.amdhsa_fp16_overflow 0
		.amdhsa_exception_fp_ieee_invalid_op 0
		.amdhsa_exception_fp_denorm_src 0
		.amdhsa_exception_fp_ieee_div_zero 0
		.amdhsa_exception_fp_ieee_overflow 0
		.amdhsa_exception_fp_ieee_underflow 0
		.amdhsa_exception_fp_ieee_inexact 0
		.amdhsa_exception_int_div_zero 0
	.end_amdhsa_kernel
	.text
.Lfunc_end1:
	.size	_Z20copy_from_fft_outputPVfPKfiii, .Lfunc_end1-_Z20copy_from_fft_outputPVfPKfiii
                                        ; -- End function
	.set _Z20copy_from_fft_outputPVfPKfiii.num_vgpr, 9
	.set _Z20copy_from_fft_outputPVfPKfiii.num_agpr, 0
	.set _Z20copy_from_fft_outputPVfPKfiii.numbered_sgpr, 9
	.set _Z20copy_from_fft_outputPVfPKfiii.num_named_barrier, 0
	.set _Z20copy_from_fft_outputPVfPKfiii.private_seg_size, 0
	.set _Z20copy_from_fft_outputPVfPKfiii.uses_vcc, 1
	.set _Z20copy_from_fft_outputPVfPKfiii.uses_flat_scratch, 0
	.set _Z20copy_from_fft_outputPVfPKfiii.has_dyn_sized_stack, 0
	.set _Z20copy_from_fft_outputPVfPKfiii.has_recursion, 0
	.set _Z20copy_from_fft_outputPVfPKfiii.has_indirect_call, 0
	.section	.AMDGPU.csdata,"",@progbits
; Kernel info:
; codeLenInByte = 536
; TotalNumSgprs: 13
; NumVgprs: 9
; ScratchSize: 0
; MemoryBound: 0
; FloatMode: 240
; IeeeMode: 1
; LDSByteSize: 0 bytes/workgroup (compile time only)
; SGPRBlocks: 1
; VGPRBlocks: 2
; NumSGPRsForWavesPerEU: 13
; NumVGPRsForWavesPerEU: 9
; Occupancy: 10
; WaveLimiterHint : 0
; COMPUTE_PGM_RSRC2:SCRATCH_EN: 0
; COMPUTE_PGM_RSRC2:USER_SGPR: 6
; COMPUTE_PGM_RSRC2:TRAP_HANDLER: 0
; COMPUTE_PGM_RSRC2:TGID_X_EN: 1
; COMPUTE_PGM_RSRC2:TGID_Y_EN: 0
; COMPUTE_PGM_RSRC2:TGID_Z_EN: 0
; COMPUTE_PGM_RSRC2:TIDIG_COMP_CNT: 0
	.text
	.protected	_Z21compute_point_box_idxPViPVfS2_PKfS4_S4_ffiii ; -- Begin function _Z21compute_point_box_idxPViPVfS2_PKfS4_S4_ffiii
	.globl	_Z21compute_point_box_idxPViPVfS2_PKfS4_S4_ffiii
	.p2align	8
	.type	_Z21compute_point_box_idxPViPVfS2_PKfS4_S4_ffiii,@function
_Z21compute_point_box_idxPViPVfS2_PKfS4_S4_ffiii: ; @_Z21compute_point_box_idxPViPVfS2_PKfS4_S4_ffiii
; %bb.0:
	s_load_dword s0, s[4:5], 0x54
	s_load_dword s1, s[4:5], 0x40
	s_waitcnt lgkmcnt(0)
	s_and_b32 s0, s0, 0xffff
	s_mul_i32 s6, s6, s0
	v_add_u32_e32 v0, s6, v0
	v_cmp_gt_i32_e32 vcc, s1, v0
	s_and_saveexec_b64 s[0:1], vcc
	s_cbranch_execz .LBB2_2
; %bb.1:
	s_load_dwordx4 s[0:3], s[4:5], 0x18
	s_load_dwordx2 s[6:7], s[4:5], 0x28
	v_ashrrev_i32_e32 v1, 31, v0
	v_lshlrev_b64 v[0:1], 2, v[0:1]
	s_load_dwordx4 s[8:11], s[4:5], 0x30
	s_waitcnt lgkmcnt(0)
	v_mov_b32_e32 v3, s1
	v_add_co_u32_e32 v2, vcc, s0, v0
	v_addc_co_u32_e32 v3, vcc, v3, v1, vcc
	global_load_dword v5, v[2:3], off
	v_mov_b32_e32 v3, s3
	v_add_co_u32_e32 v2, vcc, s2, v0
	v_addc_co_u32_e32 v3, vcc, v3, v1, vcc
	global_load_dword v6, v[2:3], off
	s_waitcnt vmcnt(1)
	v_subrev_f32_e32 v2, s8, v5
	v_div_scale_f32 v4, s[0:1], s9, s9, v2
	v_div_scale_f32 v8, vcc, v2, s9, v2
	s_waitcnt vmcnt(0)
	v_subrev_f32_e32 v3, s8, v6
	v_div_scale_f32 v7, s[0:1], s9, s9, v3
	v_div_scale_f32 v9, s[0:1], v3, s9, v3
	v_rcp_f32_e32 v10, v4
	v_fma_f32 v12, -v4, v10, 1.0
	v_fmac_f32_e32 v10, v12, v10
	v_rcp_f32_e32 v11, v7
	v_mul_f32_e32 v12, v8, v10
	v_fma_f32 v14, -v4, v12, v8
	v_fmac_f32_e32 v12, v14, v10
	v_fma_f32 v13, -v7, v11, 1.0
	v_fmac_f32_e32 v11, v13, v11
	v_mul_f32_e32 v13, v9, v11
	v_fma_f32 v15, -v7, v13, v9
	v_fmac_f32_e32 v13, v15, v11
	v_fma_f32 v4, -v4, v12, v8
	v_fma_f32 v7, -v7, v13, v9
	v_div_fmas_f32 v4, v4, v10, v12
	s_mov_b64 vcc, s[0:1]
	v_div_fmas_f32 v7, v7, v11, v13
	s_load_dwordx4 s[0:3], s[4:5], 0x0
	s_load_dwordx2 s[12:13], s[4:5], 0x10
	s_add_i32 s4, s10, -1
	s_waitcnt lgkmcnt(0)
	v_mov_b32_e32 v8, s1
	v_div_fixup_f32 v2, v4, s9, v2
	v_cvt_i32_f32_e32 v2, v2
	v_div_fixup_f32 v3, v7, s9, v3
	v_cvt_i32_f32_e32 v3, v3
	v_mov_b32_e32 v7, s7
	v_max_i32_e32 v2, 0, v2
	v_min_i32_e32 v2, s4, v2
	v_max_i32_e32 v3, 0, v3
	v_min_i32_e32 v3, s4, v3
	v_mad_u64_u32 v[2:3], s[4:5], v3, s10, v[2:3]
	v_add_co_u32_e32 v3, vcc, s0, v0
	v_addc_co_u32_e32 v4, vcc, v8, v1, vcc
	flat_store_dword v[3:4], v2
	s_waitcnt vmcnt(0)
	v_ashrrev_i32_e32 v3, 31, v2
	v_lshlrev_b64 v[2:3], 2, v[2:3]
	v_add_co_u32_e32 v2, vcc, s6, v2
	v_addc_co_u32_e32 v3, vcc, v7, v3, vcc
	global_load_dword v4, v[2:3], off
	s_waitcnt vmcnt(0)
	v_sub_f32_e32 v7, v5, v4
	v_div_scale_f32 v4, s[0:1], s9, s9, v7
	v_div_scale_f32 v5, vcc, v7, s9, v7
	s_ashr_i32 s1, s11, 31
	s_mov_b32 s0, s11
	s_lshl_b64 s[0:1], s[0:1], 2
	v_rcp_f32_e32 v8, v4
	v_fma_f32 v9, -v4, v8, 1.0
	v_fmac_f32_e32 v8, v9, v8
	v_mul_f32_e32 v9, v5, v8
	v_fma_f32 v10, -v4, v9, v5
	v_fmac_f32_e32 v9, v10, v8
	v_fma_f32 v4, -v4, v9, v5
	v_div_fmas_f32 v8, v4, v8, v9
	v_mov_b32_e32 v5, s3
	v_add_co_u32_e32 v4, vcc, s2, v0
	v_addc_co_u32_e32 v5, vcc, v5, v1, vcc
	v_mov_b32_e32 v9, s1
	v_add_co_u32_e32 v2, vcc, s0, v2
	v_addc_co_u32_e32 v3, vcc, v3, v9, vcc
	v_div_fixup_f32 v7, v8, s9, v7
	flat_store_dword v[4:5], v7
	s_waitcnt vmcnt(0)
	global_load_dword v2, v[2:3], off
	s_waitcnt vmcnt(0)
	v_sub_f32_e32 v2, v6, v2
	v_div_scale_f32 v3, s[0:1], s9, s9, v2
	v_div_scale_f32 v4, vcc, v2, s9, v2
	v_rcp_f32_e32 v5, v3
	v_fma_f32 v6, -v3, v5, 1.0
	v_fmac_f32_e32 v5, v6, v5
	v_mul_f32_e32 v6, v4, v5
	v_fma_f32 v7, -v3, v6, v4
	v_fmac_f32_e32 v6, v7, v5
	v_fma_f32 v3, -v3, v6, v4
	v_div_fmas_f32 v3, v3, v5, v6
	v_mov_b32_e32 v4, s13
	v_add_co_u32_e32 v0, vcc, s12, v0
	v_addc_co_u32_e32 v1, vcc, v4, v1, vcc
	v_div_fixup_f32 v2, v3, s9, v2
	flat_store_dword v[0:1], v2
	s_waitcnt vmcnt(0)
.LBB2_2:
	s_endpgm
	.section	.rodata,"a",@progbits
	.p2align	6, 0x0
	.amdhsa_kernel _Z21compute_point_box_idxPViPVfS2_PKfS4_S4_ffiii
		.amdhsa_group_segment_fixed_size 0
		.amdhsa_private_segment_fixed_size 0
		.amdhsa_kernarg_size 328
		.amdhsa_user_sgpr_count 6
		.amdhsa_user_sgpr_private_segment_buffer 1
		.amdhsa_user_sgpr_dispatch_ptr 0
		.amdhsa_user_sgpr_queue_ptr 0
		.amdhsa_user_sgpr_kernarg_segment_ptr 1
		.amdhsa_user_sgpr_dispatch_id 0
		.amdhsa_user_sgpr_flat_scratch_init 0
		.amdhsa_user_sgpr_private_segment_size 0
		.amdhsa_uses_dynamic_stack 0
		.amdhsa_system_sgpr_private_segment_wavefront_offset 0
		.amdhsa_system_sgpr_workgroup_id_x 1
		.amdhsa_system_sgpr_workgroup_id_y 0
		.amdhsa_system_sgpr_workgroup_id_z 0
		.amdhsa_system_sgpr_workgroup_info 0
		.amdhsa_system_vgpr_workitem_id 0
		.amdhsa_next_free_vgpr 16
		.amdhsa_next_free_sgpr 14
		.amdhsa_reserve_vcc 1
		.amdhsa_reserve_flat_scratch 0
		.amdhsa_float_round_mode_32 0
		.amdhsa_float_round_mode_16_64 0
		.amdhsa_float_denorm_mode_32 3
		.amdhsa_float_denorm_mode_16_64 3
		.amdhsa_dx10_clamp 1
		.amdhsa_ieee_mode 1
		.amdhsa_fp16_overflow 0
		.amdhsa_exception_fp_ieee_invalid_op 0
		.amdhsa_exception_fp_denorm_src 0
		.amdhsa_exception_fp_ieee_div_zero 0
		.amdhsa_exception_fp_ieee_overflow 0
		.amdhsa_exception_fp_ieee_underflow 0
		.amdhsa_exception_fp_ieee_inexact 0
		.amdhsa_exception_int_div_zero 0
	.end_amdhsa_kernel
	.text
.Lfunc_end2:
	.size	_Z21compute_point_box_idxPViPVfS2_PKfS4_S4_ffiii, .Lfunc_end2-_Z21compute_point_box_idxPViPVfS2_PKfS4_S4_ffiii
                                        ; -- End function
	.set _Z21compute_point_box_idxPViPVfS2_PKfS4_S4_ffiii.num_vgpr, 16
	.set _Z21compute_point_box_idxPViPVfS2_PKfS4_S4_ffiii.num_agpr, 0
	.set _Z21compute_point_box_idxPViPVfS2_PKfS4_S4_ffiii.numbered_sgpr, 14
	.set _Z21compute_point_box_idxPViPVfS2_PKfS4_S4_ffiii.num_named_barrier, 0
	.set _Z21compute_point_box_idxPViPVfS2_PKfS4_S4_ffiii.private_seg_size, 0
	.set _Z21compute_point_box_idxPViPVfS2_PKfS4_S4_ffiii.uses_vcc, 1
	.set _Z21compute_point_box_idxPViPVfS2_PKfS4_S4_ffiii.uses_flat_scratch, 0
	.set _Z21compute_point_box_idxPViPVfS2_PKfS4_S4_ffiii.has_dyn_sized_stack, 0
	.set _Z21compute_point_box_idxPViPVfS2_PKfS4_S4_ffiii.has_recursion, 0
	.set _Z21compute_point_box_idxPViPVfS2_PKfS4_S4_ffiii.has_indirect_call, 0
	.section	.AMDGPU.csdata,"",@progbits
; Kernel info:
; codeLenInByte = 648
; TotalNumSgprs: 18
; NumVgprs: 16
; ScratchSize: 0
; MemoryBound: 0
; FloatMode: 240
; IeeeMode: 1
; LDSByteSize: 0 bytes/workgroup (compile time only)
; SGPRBlocks: 2
; VGPRBlocks: 3
; NumSGPRsForWavesPerEU: 18
; NumVGPRsForWavesPerEU: 16
; Occupancy: 10
; WaveLimiterHint : 0
; COMPUTE_PGM_RSRC2:SCRATCH_EN: 0
; COMPUTE_PGM_RSRC2:USER_SGPR: 6
; COMPUTE_PGM_RSRC2:TRAP_HANDLER: 0
; COMPUTE_PGM_RSRC2:TGID_X_EN: 1
; COMPUTE_PGM_RSRC2:TGID_Y_EN: 0
; COMPUTE_PGM_RSRC2:TGID_Z_EN: 0
; COMPUTE_PGM_RSRC2:TIDIG_COMP_CNT: 0
	.text
	.protected	_Z18interpolate_devicePVfPKfS2_S2_ii ; -- Begin function _Z18interpolate_devicePVfPKfS2_S2_ii
	.globl	_Z18interpolate_devicePVfPKfS2_S2_ii
	.p2align	8
	.type	_Z18interpolate_devicePVfPKfS2_S2_ii,@function
_Z18interpolate_devicePVfPKfS2_S2_ii:   ; @_Z18interpolate_devicePVfPKfS2_S2_ii
; %bb.0:
	s_load_dword s0, s[4:5], 0x34
	s_load_dwordx2 s[8:9], s[4:5], 0x20
	s_waitcnt lgkmcnt(0)
	s_and_b32 s0, s0, 0xffff
	s_mul_i32 s6, s6, s0
	v_add_u32_e32 v0, s6, v0
	s_mul_i32 s0, s9, s8
	v_cmp_gt_i32_e32 vcc, s0, v0
	s_and_saveexec_b64 s[0:1], vcc
	s_cbranch_execz .LBB3_8
; %bb.1:
	s_abs_i32 s12, s9
	v_cvt_f32_u32_e32 v1, s12
	s_sub_i32 s0, 0, s12
	v_sub_u32_e32 v3, 0, v0
	v_max_i32_e32 v3, v0, v3
	v_rcp_iflag_f32_e32 v1, v1
	v_xor_b32_e32 v4, s9, v0
	v_ashrrev_i32_e32 v4, 31, v4
	s_cmp_lt_i32 s8, 1
	v_mul_f32_e32 v1, 0x4f7ffffe, v1
	v_cvt_u32_f32_e32 v1, v1
	v_mul_lo_u32 v2, s0, v1
	s_load_dwordx2 s[6:7], s[4:5], 0x0
	s_load_dwordx4 s[0:3], s[4:5], 0x8
	s_load_dwordx2 s[10:11], s[4:5], 0x18
	v_mul_hi_u32 v2, v1, v2
	v_add_u32_e32 v1, v1, v2
	v_mul_hi_u32 v1, v3, v1
	v_mul_lo_u32 v2, v1, s12
	v_add_u32_e32 v5, 1, v1
	v_sub_u32_e32 v2, v3, v2
	v_cmp_le_u32_e32 vcc, s12, v2
	v_subrev_u32_e32 v3, s12, v2
	v_cndmask_b32_e32 v1, v1, v5, vcc
	v_cndmask_b32_e32 v2, v2, v3, vcc
	v_add_u32_e32 v3, 1, v1
	v_cmp_le_u32_e32 vcc, s12, v2
	v_cndmask_b32_e32 v1, v1, v3, vcc
	v_xor_b32_e32 v1, v1, v4
	v_sub_u32_e32 v1, v1, v4
	s_cbranch_scc1 .LBB3_6
; %bb.2:
	v_mul_lo_u32 v2, v1, s9
	s_waitcnt lgkmcnt(0)
	v_mov_b32_e32 v4, s1
	v_sub_u32_e32 v2, v0, v2
	v_ashrrev_i32_e32 v3, 31, v2
	v_lshlrev_b64 v[2:3], 2, v[2:3]
	v_add_co_u32_e32 v2, vcc, s0, v2
	v_addc_co_u32_e32 v3, vcc, v4, v3, vcc
	global_load_dword v2, v[2:3], off
	v_mov_b32_e32 v3, 1.0
	v_mov_b32_e32 v4, v1
	s_branch .LBB3_4
.LBB3_3:                                ;   in Loop: Header=BB3_4 Depth=1
	s_or_b64 exec, exec, s[0:1]
	s_add_u32 s2, s2, 4
	s_addc_u32 s3, s3, 0
	s_add_i32 s8, s8, -1
	s_cmp_lg_u32 s8, 0
	s_cbranch_scc0 .LBB3_7
.LBB3_4:                                ; =>This Inner Loop Header: Depth=1
	v_subrev_co_u32_e32 v4, vcc, 1, v4
	s_xor_b64 s[4:5], vcc, -1
	s_and_saveexec_b64 s[0:1], s[4:5]
	s_cbranch_execz .LBB3_3
; %bb.5:                                ;   in Loop: Header=BB3_4 Depth=1
	s_load_dword s4, s[2:3], 0x0
	s_waitcnt vmcnt(0) lgkmcnt(0)
	v_subrev_f32_e32 v5, s4, v2
	v_mul_f32_e32 v3, v3, v5
	s_branch .LBB3_3
.LBB3_6:
	v_mov_b32_e32 v3, 1.0
.LBB3_7:
	s_waitcnt vmcnt(0)
	v_ashrrev_i32_e32 v2, 31, v1
	v_lshlrev_b64 v[1:2], 2, v[1:2]
	s_waitcnt lgkmcnt(0)
	v_mov_b32_e32 v4, s11
	v_add_co_u32_e32 v1, vcc, s10, v1
	v_addc_co_u32_e32 v2, vcc, v4, v2, vcc
	global_load_dword v2, v[1:2], off
	s_waitcnt vmcnt(0)
	v_div_scale_f32 v1, s[0:1], v2, v2, v3
	v_div_scale_f32 v4, vcc, v3, v2, v3
	v_rcp_f32_e32 v5, v1
	v_fma_f32 v6, -v1, v5, 1.0
	v_fmac_f32_e32 v5, v6, v5
	v_mul_f32_e32 v6, v4, v5
	v_fma_f32 v7, -v1, v6, v4
	v_fmac_f32_e32 v6, v7, v5
	v_fma_f32 v1, -v1, v6, v4
	v_div_fmas_f32 v4, v1, v5, v6
	v_ashrrev_i32_e32 v1, 31, v0
	v_lshlrev_b64 v[0:1], 2, v[0:1]
	v_mov_b32_e32 v5, s7
	v_add_co_u32_e32 v0, vcc, s6, v0
	v_addc_co_u32_e32 v1, vcc, v5, v1, vcc
	v_div_fixup_f32 v2, v4, v2, v3
	flat_store_dword v[0:1], v2
	s_waitcnt vmcnt(0)
.LBB3_8:
	s_endpgm
	.section	.rodata,"a",@progbits
	.p2align	6, 0x0
	.amdhsa_kernel _Z18interpolate_devicePVfPKfS2_S2_ii
		.amdhsa_group_segment_fixed_size 0
		.amdhsa_private_segment_fixed_size 0
		.amdhsa_kernarg_size 296
		.amdhsa_user_sgpr_count 6
		.amdhsa_user_sgpr_private_segment_buffer 1
		.amdhsa_user_sgpr_dispatch_ptr 0
		.amdhsa_user_sgpr_queue_ptr 0
		.amdhsa_user_sgpr_kernarg_segment_ptr 1
		.amdhsa_user_sgpr_dispatch_id 0
		.amdhsa_user_sgpr_flat_scratch_init 0
		.amdhsa_user_sgpr_private_segment_size 0
		.amdhsa_uses_dynamic_stack 0
		.amdhsa_system_sgpr_private_segment_wavefront_offset 0
		.amdhsa_system_sgpr_workgroup_id_x 1
		.amdhsa_system_sgpr_workgroup_id_y 0
		.amdhsa_system_sgpr_workgroup_id_z 0
		.amdhsa_system_sgpr_workgroup_info 0
		.amdhsa_system_vgpr_workitem_id 0
		.amdhsa_next_free_vgpr 8
		.amdhsa_next_free_sgpr 13
		.amdhsa_reserve_vcc 1
		.amdhsa_reserve_flat_scratch 0
		.amdhsa_float_round_mode_32 0
		.amdhsa_float_round_mode_16_64 0
		.amdhsa_float_denorm_mode_32 3
		.amdhsa_float_denorm_mode_16_64 3
		.amdhsa_dx10_clamp 1
		.amdhsa_ieee_mode 1
		.amdhsa_fp16_overflow 0
		.amdhsa_exception_fp_ieee_invalid_op 0
		.amdhsa_exception_fp_denorm_src 0
		.amdhsa_exception_fp_ieee_div_zero 0
		.amdhsa_exception_fp_ieee_overflow 0
		.amdhsa_exception_fp_ieee_underflow 0
		.amdhsa_exception_fp_ieee_inexact 0
		.amdhsa_exception_int_div_zero 0
	.end_amdhsa_kernel
	.text
.Lfunc_end3:
	.size	_Z18interpolate_devicePVfPKfS2_S2_ii, .Lfunc_end3-_Z18interpolate_devicePVfPKfS2_S2_ii
                                        ; -- End function
	.set _Z18interpolate_devicePVfPKfS2_S2_ii.num_vgpr, 8
	.set _Z18interpolate_devicePVfPKfS2_S2_ii.num_agpr, 0
	.set _Z18interpolate_devicePVfPKfS2_S2_ii.numbered_sgpr, 13
	.set _Z18interpolate_devicePVfPKfS2_S2_ii.num_named_barrier, 0
	.set _Z18interpolate_devicePVfPKfS2_S2_ii.private_seg_size, 0
	.set _Z18interpolate_devicePVfPKfS2_S2_ii.uses_vcc, 1
	.set _Z18interpolate_devicePVfPKfS2_S2_ii.uses_flat_scratch, 0
	.set _Z18interpolate_devicePVfPKfS2_S2_ii.has_dyn_sized_stack, 0
	.set _Z18interpolate_devicePVfPKfS2_S2_ii.has_recursion, 0
	.set _Z18interpolate_devicePVfPKfS2_S2_ii.has_indirect_call, 0
	.section	.AMDGPU.csdata,"",@progbits
; Kernel info:
; codeLenInByte = 492
; TotalNumSgprs: 17
; NumVgprs: 8
; ScratchSize: 0
; MemoryBound: 0
; FloatMode: 240
; IeeeMode: 1
; LDSByteSize: 0 bytes/workgroup (compile time only)
; SGPRBlocks: 2
; VGPRBlocks: 1
; NumSGPRsForWavesPerEU: 17
; NumVGPRsForWavesPerEU: 8
; Occupancy: 10
; WaveLimiterHint : 0
; COMPUTE_PGM_RSRC2:SCRATCH_EN: 0
; COMPUTE_PGM_RSRC2:USER_SGPR: 6
; COMPUTE_PGM_RSRC2:TRAP_HANDLER: 0
; COMPUTE_PGM_RSRC2:TGID_X_EN: 1
; COMPUTE_PGM_RSRC2:TGID_Y_EN: 0
; COMPUTE_PGM_RSRC2:TGID_Z_EN: 0
; COMPUTE_PGM_RSRC2:TIDIG_COMP_CNT: 0
	.text
	.protected	_Z28compute_interpolated_indicesPfPKiPKfS3_S3_iiii ; -- Begin function _Z28compute_interpolated_indicesPfPKiPKfS3_S3_iiii
	.globl	_Z28compute_interpolated_indicesPfPKiPKfS3_S3_iiii
	.p2align	8
	.type	_Z28compute_interpolated_indicesPfPKiPKfS3_S3_iiii,@function
_Z28compute_interpolated_indicesPfPKiPKfS3_S3_iiii: ; @_Z28compute_interpolated_indicesPfPKiPKfS3_S3_iiii
; %bb.0:
	s_load_dword s7, s[4:5], 0x44
	s_load_dwordx4 s[0:3], s[4:5], 0x28
	s_waitcnt lgkmcnt(0)
	s_and_b32 s7, s7, 0xffff
	s_mul_i32 s8, s1, s0
	s_mul_i32 s6, s6, s7
	v_add_u32_e32 v2, s6, v0
	s_mul_i32 s6, s8, s1
	s_mul_i32 s6, s6, s3
	v_cmp_gt_i32_e32 vcc, s6, v2
	s_and_saveexec_b64 s[6:7], vcc
	s_cbranch_execz .LBB4_3
; %bb.1:
	s_abs_i32 s6, s3
	v_cvt_f32_u32_e32 v0, s6
	s_abs_i32 s7, s0
	v_cvt_f32_u32_e32 v1, s7
	s_sub_i32 s8, 0, s6
	v_rcp_iflag_f32_e32 v0, v0
	v_sub_u32_e32 v4, 0, v2
	v_rcp_iflag_f32_e32 v1, v1
	v_max_i32_e32 v4, v2, v4
	v_mul_f32_e32 v0, 0x4f7ffffe, v0
	v_cvt_u32_f32_e32 v0, v0
	v_mul_f32_e32 v1, 0x4f7ffffe, v1
	v_cvt_u32_f32_e32 v1, v1
	v_mul_lo_u32 v3, s8, v0
	s_sub_i32 s8, 0, s7
	v_mul_lo_u32 v5, s8, v1
	s_load_dwordx8 s[8:15], s[4:5], 0x8
	v_mul_hi_u32 v3, v0, v3
	s_load_dwordx2 s[4:5], s[4:5], 0x0
	s_waitcnt lgkmcnt(0)
	v_mov_b32_e32 v7, s9
	v_add_u32_e32 v0, v0, v3
	v_mul_hi_u32 v0, v4, v0
	v_mul_hi_u32 v3, v1, v5
	v_xor_b32_e32 v5, s3, v2
	v_ashrrev_i32_e32 v5, 31, v5
	v_mul_lo_u32 v6, v0, s6
	v_add_u32_e32 v1, v1, v3
	v_add_u32_e32 v3, 1, v0
	s_abs_i32 s9, s2
	v_sub_u32_e32 v4, v4, v6
	v_cmp_le_u32_e32 vcc, s6, v4
	v_cndmask_b32_e32 v0, v0, v3, vcc
	v_subrev_u32_e32 v3, s6, v4
	v_cndmask_b32_e32 v3, v4, v3, vcc
	v_add_u32_e32 v4, 1, v0
	v_cmp_le_u32_e32 vcc, s6, v3
	v_cndmask_b32_e32 v0, v0, v4, vcc
	v_xor_b32_e32 v0, v0, v5
	v_sub_u32_e32 v4, v0, v5
	v_sub_u32_e32 v0, 0, v4
	v_max_i32_e32 v0, v4, v0
	v_mul_hi_u32 v1, v0, v1
	v_xor_b32_e32 v5, s0, v4
	v_ashrrev_i32_e32 v5, 31, v5
	v_mov_b32_e32 v9, s11
	v_mul_lo_u32 v3, v1, s7
	v_add_u32_e32 v6, 1, v1
	v_mov_b32_e32 v12, s13
	v_mov_b32_e32 v13, s15
	v_sub_u32_e32 v0, v0, v3
	v_cmp_le_u32_e32 vcc, s7, v0
	v_subrev_u32_e32 v3, s7, v0
	v_cndmask_b32_e32 v1, v1, v6, vcc
	v_cndmask_b32_e32 v0, v0, v3, vcc
	v_add_u32_e32 v3, 1, v1
	v_cmp_le_u32_e32 vcc, s7, v0
	v_cndmask_b32_e32 v0, v1, v3, vcc
	v_xor_b32_e32 v0, v0, v5
	v_sub_u32_e32 v3, v0, v5
	v_mul_lo_u32 v0, v3, s0
	s_sub_i32 s7, 0, s9
	v_xor_b32_e32 v15, s1, v3
	v_ashrrev_i32_e32 v15, 31, v15
	v_sub_u32_e32 v0, v4, v0
	v_ashrrev_i32_e32 v1, 31, v0
	v_lshlrev_b64 v[5:6], 2, v[0:1]
	v_mul_lo_u32 v4, v4, s3
	v_add_co_u32_e32 v5, vcc, s8, v5
	v_addc_co_u32_e32 v6, vcc, v7, v6, vcc
	global_load_dword v1, v[5:6], off
	s_abs_i32 s8, s1
	v_cvt_f32_u32_e32 v5, s8
	v_cvt_f32_u32_e32 v6, s9
	s_sub_i32 s6, 0, s8
	v_sub_u32_e32 v4, v2, v4
	v_rcp_iflag_f32_e32 v5, v5
	v_rcp_iflag_f32_e32 v6, v6
	v_sub_u32_e32 v2, 0, v3
	v_max_i32_e32 v2, v3, v2
	v_mul_f32_e32 v5, 0x4f7ffffe, v5
	v_cvt_u32_f32_e32 v5, v5
	v_mul_f32_e32 v6, 0x4f7ffffe, v6
	v_cvt_u32_f32_e32 v6, v6
	v_mov_b32_e32 v11, s5
	v_mul_lo_u32 v7, s6, v5
	v_mul_lo_u32 v8, s7, v6
	v_mul_hi_u32 v7, v5, v7
	v_mul_hi_u32 v8, v6, v8
	v_add_u32_e32 v7, v5, v7
	v_mul_hi_u32 v14, v2, v7
	v_ashrrev_i32_e32 v5, 31, v4
	v_add_u32_e32 v10, v6, v8
	v_lshlrev_b64 v[5:6], 2, v[4:5]
	v_add_u32_e32 v16, 1, v14
	v_mad_u64_u32 v[7:8], s[6:7], v0, s3, v[4:5]
	v_mul_lo_u32 v4, v14, s8
	v_ashrrev_i32_e32 v8, 31, v7
	v_lshlrev_b64 v[7:8], 2, v[7:8]
	v_sub_u32_e32 v2, v2, v4
	v_cmp_le_u32_e32 vcc, s8, v2
	v_cndmask_b32_e32 v4, v14, v16, vcc
	v_subrev_u32_e32 v14, s8, v2
	v_cndmask_b32_e32 v2, v2, v14, vcc
	v_add_co_u32_e32 v7, vcc, s10, v7
	v_addc_co_u32_e32 v8, vcc, v9, v8, vcc
	v_add_u32_e32 v14, 1, v4
	v_cmp_le_u32_e32 vcc, s8, v2
	v_cndmask_b32_e32 v2, v4, v14, vcc
	v_xor_b32_e32 v2, v2, v15
	v_sub_u32_e32 v2, v2, v15
	global_load_dword v14, v[7:8], off
	s_waitcnt vmcnt(1)
	v_sub_u32_e32 v4, 0, v1
	v_max_i32_e32 v4, v1, v4
	v_mul_hi_u32 v9, v4, v10
	v_mad_u64_u32 v[7:8], s[6:7], v2, s0, v[0:1]
	v_xor_b32_e32 v15, s2, v1
	v_mul_lo_u32 v8, v9, s9
	v_add_u32_e32 v16, 1, v9
	v_ashrrev_i32_e32 v15, 31, v15
	v_mul_lo_u32 v10, v2, s1
	v_sub_u32_e32 v4, v4, v8
	v_cmp_le_u32_e32 vcc, s9, v4
	v_cndmask_b32_e32 v8, v9, v16, vcc
	v_subrev_u32_e32 v9, s9, v4
	v_cndmask_b32_e32 v4, v4, v9, vcc
	v_add_u32_e32 v9, 1, v8
	v_cmp_le_u32_e32 vcc, s9, v4
	v_cndmask_b32_e32 v4, v8, v9, vcc
	v_xor_b32_e32 v4, v4, v15
	v_sub_u32_e32 v4, v4, v15
	v_mul_lo_u32 v9, v4, s2
	v_sub_u32_e32 v3, v3, v10
	v_ashrrev_i32_e32 v8, 31, v7
	v_lshlrev_b64 v[7:8], 2, v[7:8]
	v_sub_u32_e32 v1, v1, v9
	v_mad_u64_u32 v[1:2], s[6:7], v1, s1, v[2:3]
	v_mad_u64_u32 v[9:10], s[6:7], v3, s0, v[0:1]
	;; [unrolled: 1-line block ×3, first 2 shown]
	v_add_co_u32_e32 v1, vcc, s12, v7
	v_mad_u64_u32 v[3:4], s[0:1], v0, s1, v[3:4]
	v_addc_co_u32_e32 v2, vcc, v12, v8, vcc
	global_load_dword v4, v[1:2], off
	v_ashrrev_i32_e32 v10, 31, v9
	v_mul_lo_u32 v2, v3, s3
	v_lshlrev_b64 v[0:1], 2, v[9:10]
	s_mov_b64 s[0:1], 0
	v_add_co_u32_e32 v0, vcc, s14, v0
	v_addc_co_u32_e32 v1, vcc, v13, v1, vcc
	v_ashrrev_i32_e32 v3, 31, v2
	global_load_dword v7, v[0:1], off
	v_lshlrev_b64 v[0:1], 2, v[2:3]
	v_add_co_u32_e32 v0, vcc, s4, v0
	v_addc_co_u32_e32 v1, vcc, v11, v1, vcc
	v_add_co_u32_e32 v0, vcc, v0, v5
	v_addc_co_u32_e32 v1, vcc, v1, v6, vcc
	global_load_dword v3, v[0:1], off
	s_waitcnt vmcnt(1)
	v_mul_f32_e32 v2, v4, v7
	v_mul_f32_e32 v4, v2, v14
.LBB4_2:                                ; =>This Inner Loop Header: Depth=1
	s_waitcnt vmcnt(0)
	v_add_f32_e32 v2, v3, v4
	global_atomic_cmpswap v2, v[0:1], v[2:3], off glc
	s_waitcnt vmcnt(0)
	v_cmp_eq_u32_e32 vcc, v2, v3
	s_or_b64 s[0:1], vcc, s[0:1]
	v_mov_b32_e32 v3, v2
	s_andn2_b64 exec, exec, s[0:1]
	s_cbranch_execnz .LBB4_2
.LBB4_3:
	s_endpgm
	.section	.rodata,"a",@progbits
	.p2align	6, 0x0
	.amdhsa_kernel _Z28compute_interpolated_indicesPfPKiPKfS3_S3_iiii
		.amdhsa_group_segment_fixed_size 0
		.amdhsa_private_segment_fixed_size 0
		.amdhsa_kernarg_size 312
		.amdhsa_user_sgpr_count 6
		.amdhsa_user_sgpr_private_segment_buffer 1
		.amdhsa_user_sgpr_dispatch_ptr 0
		.amdhsa_user_sgpr_queue_ptr 0
		.amdhsa_user_sgpr_kernarg_segment_ptr 1
		.amdhsa_user_sgpr_dispatch_id 0
		.amdhsa_user_sgpr_flat_scratch_init 0
		.amdhsa_user_sgpr_private_segment_size 0
		.amdhsa_uses_dynamic_stack 0
		.amdhsa_system_sgpr_private_segment_wavefront_offset 0
		.amdhsa_system_sgpr_workgroup_id_x 1
		.amdhsa_system_sgpr_workgroup_id_y 0
		.amdhsa_system_sgpr_workgroup_id_z 0
		.amdhsa_system_sgpr_workgroup_info 0
		.amdhsa_system_vgpr_workitem_id 0
		.amdhsa_next_free_vgpr 17
		.amdhsa_next_free_sgpr 16
		.amdhsa_reserve_vcc 1
		.amdhsa_reserve_flat_scratch 0
		.amdhsa_float_round_mode_32 0
		.amdhsa_float_round_mode_16_64 0
		.amdhsa_float_denorm_mode_32 3
		.amdhsa_float_denorm_mode_16_64 3
		.amdhsa_dx10_clamp 1
		.amdhsa_ieee_mode 1
		.amdhsa_fp16_overflow 0
		.amdhsa_exception_fp_ieee_invalid_op 0
		.amdhsa_exception_fp_denorm_src 0
		.amdhsa_exception_fp_ieee_div_zero 0
		.amdhsa_exception_fp_ieee_overflow 0
		.amdhsa_exception_fp_ieee_underflow 0
		.amdhsa_exception_fp_ieee_inexact 0
		.amdhsa_exception_int_div_zero 0
	.end_amdhsa_kernel
	.text
.Lfunc_end4:
	.size	_Z28compute_interpolated_indicesPfPKiPKfS3_S3_iiii, .Lfunc_end4-_Z28compute_interpolated_indicesPfPKiPKfS3_S3_iiii
                                        ; -- End function
	.set _Z28compute_interpolated_indicesPfPKiPKfS3_S3_iiii.num_vgpr, 17
	.set _Z28compute_interpolated_indicesPfPKiPKfS3_S3_iiii.num_agpr, 0
	.set _Z28compute_interpolated_indicesPfPKiPKfS3_S3_iiii.numbered_sgpr, 16
	.set _Z28compute_interpolated_indicesPfPKiPKfS3_S3_iiii.num_named_barrier, 0
	.set _Z28compute_interpolated_indicesPfPKiPKfS3_S3_iiii.private_seg_size, 0
	.set _Z28compute_interpolated_indicesPfPKiPKfS3_S3_iiii.uses_vcc, 1
	.set _Z28compute_interpolated_indicesPfPKiPKfS3_S3_iiii.uses_flat_scratch, 0
	.set _Z28compute_interpolated_indicesPfPKiPKfS3_S3_iiii.has_dyn_sized_stack, 0
	.set _Z28compute_interpolated_indicesPfPKiPKfS3_S3_iiii.has_recursion, 0
	.set _Z28compute_interpolated_indicesPfPKiPKfS3_S3_iiii.has_indirect_call, 0
	.section	.AMDGPU.csdata,"",@progbits
; Kernel info:
; codeLenInByte = 924
; TotalNumSgprs: 20
; NumVgprs: 17
; ScratchSize: 0
; MemoryBound: 0
; FloatMode: 240
; IeeeMode: 1
; LDSByteSize: 0 bytes/workgroup (compile time only)
; SGPRBlocks: 2
; VGPRBlocks: 4
; NumSGPRsForWavesPerEU: 20
; NumVGPRsForWavesPerEU: 17
; Occupancy: 10
; WaveLimiterHint : 1
; COMPUTE_PGM_RSRC2:SCRATCH_EN: 0
; COMPUTE_PGM_RSRC2:USER_SGPR: 6
; COMPUTE_PGM_RSRC2:TRAP_HANDLER: 0
; COMPUTE_PGM_RSRC2:TGID_X_EN: 1
; COMPUTE_PGM_RSRC2:TGID_Y_EN: 0
; COMPUTE_PGM_RSRC2:TGID_Z_EN: 0
; COMPUTE_PGM_RSRC2:TIDIG_COMP_CNT: 0
	.text
	.protected	_Z25compute_potential_indicesPfPKiPKfS3_S3_iiii ; -- Begin function _Z25compute_potential_indicesPfPKiPKfS3_S3_iiii
	.globl	_Z25compute_potential_indicesPfPKiPKfS3_S3_iiii
	.p2align	8
	.type	_Z25compute_potential_indicesPfPKiPKfS3_S3_iiii,@function
_Z25compute_potential_indicesPfPKiPKfS3_S3_iiii: ; @_Z25compute_potential_indicesPfPKiPKfS3_S3_iiii
; %bb.0:
	s_load_dword s7, s[4:5], 0x44
	s_load_dwordx4 s[0:3], s[4:5], 0x28
	s_waitcnt lgkmcnt(0)
	s_and_b32 s7, s7, 0xffff
	s_mul_i32 s8, s1, s0
	s_mul_i32 s6, s6, s7
	v_add_u32_e32 v2, s6, v0
	s_mul_i32 s6, s8, s1
	s_mul_i32 s6, s6, s3
	v_cmp_gt_i32_e32 vcc, s6, v2
	s_and_saveexec_b64 s[6:7], vcc
	s_cbranch_execz .LBB5_3
; %bb.1:
	s_abs_i32 s6, s3
	v_cvt_f32_u32_e32 v0, s6
	s_abs_i32 s7, s0
	v_cvt_f32_u32_e32 v1, s7
	s_sub_i32 s8, 0, s6
	v_rcp_iflag_f32_e32 v0, v0
	v_sub_u32_e32 v4, 0, v2
	v_rcp_iflag_f32_e32 v1, v1
	v_max_i32_e32 v4, v2, v4
	v_mul_f32_e32 v0, 0x4f7ffffe, v0
	v_cvt_u32_f32_e32 v0, v0
	v_mul_f32_e32 v1, 0x4f7ffffe, v1
	v_cvt_u32_f32_e32 v1, v1
	v_mul_lo_u32 v3, s8, v0
	s_sub_i32 s8, 0, s7
	v_mul_lo_u32 v5, s8, v1
	s_load_dwordx8 s[8:15], s[4:5], 0x8
	v_mul_hi_u32 v3, v0, v3
	s_load_dwordx2 s[4:5], s[4:5], 0x0
	s_waitcnt lgkmcnt(0)
	v_mov_b32_e32 v7, s9
	v_add_u32_e32 v0, v0, v3
	v_mul_hi_u32 v0, v4, v0
	v_mul_hi_u32 v3, v1, v5
	v_xor_b32_e32 v5, s3, v2
	v_ashrrev_i32_e32 v5, 31, v5
	v_mul_lo_u32 v6, v0, s6
	v_add_u32_e32 v1, v1, v3
	v_add_u32_e32 v3, 1, v0
	v_mov_b32_e32 v8, s5
	v_sub_u32_e32 v4, v4, v6
	v_cmp_le_u32_e32 vcc, s6, v4
	v_cndmask_b32_e32 v0, v0, v3, vcc
	v_subrev_u32_e32 v3, s6, v4
	v_cndmask_b32_e32 v3, v4, v3, vcc
	v_add_u32_e32 v4, 1, v0
	v_cmp_le_u32_e32 vcc, s6, v3
	v_cndmask_b32_e32 v0, v0, v4, vcc
	v_xor_b32_e32 v0, v0, v5
	v_sub_u32_e32 v4, v0, v5
	v_sub_u32_e32 v0, 0, v4
	v_max_i32_e32 v0, v4, v0
	v_mul_hi_u32 v1, v0, v1
	v_xor_b32_e32 v5, s0, v4
	v_ashrrev_i32_e32 v5, 31, v5
	s_abs_i32 s6, s1
	v_mul_lo_u32 v3, v1, s7
	v_add_u32_e32 v6, 1, v1
	v_mov_b32_e32 v13, s13
	v_mov_b32_e32 v14, s15
	v_sub_u32_e32 v0, v0, v3
	v_cmp_le_u32_e32 vcc, s7, v0
	v_subrev_u32_e32 v3, s7, v0
	v_cndmask_b32_e32 v1, v1, v6, vcc
	v_cndmask_b32_e32 v0, v0, v3, vcc
	v_add_u32_e32 v3, 1, v1
	v_cmp_le_u32_e32 vcc, s7, v0
	v_cndmask_b32_e32 v0, v1, v3, vcc
	v_xor_b32_e32 v0, v0, v5
	v_sub_u32_e32 v3, v0, v5
	v_mul_lo_u32 v0, v3, s0
	s_abs_i32 s7, s2
	s_sub_i32 s9, 0, s7
	v_mov_b32_e32 v15, s11
	v_sub_u32_e32 v0, v4, v0
	v_ashrrev_i32_e32 v1, 31, v0
	v_lshlrev_b64 v[5:6], 2, v[0:1]
	v_mul_lo_u32 v4, v4, s3
	v_add_co_u32_e32 v5, vcc, s8, v5
	v_addc_co_u32_e32 v6, vcc, v7, v6, vcc
	global_load_dword v1, v[5:6], off
	v_cvt_f32_u32_e32 v5, s6
	v_cvt_f32_u32_e32 v6, s7
	s_sub_i32 s8, 0, s6
	v_sub_u32_e32 v4, v2, v4
	v_rcp_iflag_f32_e32 v5, v5
	v_rcp_iflag_f32_e32 v6, v6
	v_sub_u32_e32 v2, 0, v3
	v_max_i32_e32 v2, v3, v2
	v_mul_f32_e32 v5, 0x4f7ffffe, v5
	v_cvt_u32_f32_e32 v5, v5
	v_mul_f32_e32 v6, 0x4f7ffffe, v6
	v_cvt_u32_f32_e32 v6, v6
	v_mul_lo_u32 v7, s8, v5
	v_mul_lo_u32 v9, s9, v6
	v_mul_hi_u32 v7, v5, v7
	v_mul_hi_u32 v9, v6, v9
	v_add_u32_e32 v5, v5, v7
	v_mul_hi_u32 v10, v2, v5
	v_add_u32_e32 v9, v6, v9
	v_mul_lo_u32 v6, v0, s3
	v_xor_b32_e32 v7, s1, v3
	v_mul_lo_u32 v11, v10, s6
	v_ashrrev_i32_e32 v12, 31, v7
	v_ashrrev_i32_e32 v7, 31, v6
	v_lshlrev_b64 v[6:7], 2, v[6:7]
	v_sub_u32_e32 v2, v2, v11
	v_add_u32_e32 v16, 1, v10
	v_cmp_le_u32_e32 vcc, s6, v2
	v_subrev_u32_e32 v11, s6, v2
	v_cndmask_b32_e32 v10, v10, v16, vcc
	v_cndmask_b32_e32 v2, v2, v11, vcc
	v_add_co_u32_e32 v16, vcc, s4, v6
	v_addc_co_u32_e32 v17, vcc, v8, v7, vcc
	v_add_u32_e32 v11, 1, v10
	v_cmp_le_u32_e32 vcc, s6, v2
	v_cndmask_b32_e32 v2, v10, v11, vcc
	v_xor_b32_e32 v2, v2, v12
	v_sub_u32_e32 v2, v2, v12
	v_mul_lo_u32 v11, v2, s1
	v_ashrrev_i32_e32 v5, 31, v4
	s_waitcnt vmcnt(0)
	v_sub_u32_e32 v6, 0, v1
	v_max_i32_e32 v6, v1, v6
	v_mul_hi_u32 v7, v6, v9
	v_xor_b32_e32 v9, s2, v1
	v_ashrrev_i32_e32 v9, 31, v9
	v_mul_lo_u32 v8, v7, s7
	v_add_u32_e32 v10, 1, v7
	v_sub_u32_e32 v6, v6, v8
	v_cmp_le_u32_e32 vcc, s7, v6
	v_subrev_u32_e32 v8, s7, v6
	v_cndmask_b32_e32 v7, v7, v10, vcc
	v_cndmask_b32_e32 v6, v6, v8, vcc
	v_add_u32_e32 v8, 1, v7
	v_cmp_le_u32_e32 vcc, s7, v6
	v_cndmask_b32_e32 v6, v7, v8, vcc
	v_xor_b32_e32 v6, v6, v9
	v_sub_u32_e32 v6, v6, v9
	v_mul_lo_u32 v9, v6, s2
	v_mad_u64_u32 v[7:8], s[4:5], v2, s0, v[0:1]
	v_sub_u32_e32 v12, v1, v9
	v_sub_u32_e32 v1, v3, v11
	v_ashrrev_i32_e32 v8, 31, v7
	v_mad_u64_u32 v[2:3], s[4:5], v12, s1, v[2:3]
	v_lshlrev_b64 v[7:8], 2, v[7:8]
	v_lshlrev_b64 v[9:10], 2, v[4:5]
	v_add_co_u32_e32 v5, vcc, s12, v7
	v_mad_u64_u32 v[2:3], s[4:5], v2, s2, v[6:7]
	v_addc_co_u32_e32 v6, vcc, v13, v8, vcc
	global_load_dword v5, v[5:6], off
	v_mad_u64_u32 v[11:12], s[4:5], v1, s0, v[0:1]
	v_mad_u64_u32 v[0:1], s[0:1], v2, s1, v[1:2]
	v_ashrrev_i32_e32 v12, 31, v11
	v_lshlrev_b64 v[1:2], 2, v[11:12]
	s_waitcnt vmcnt(0)
	v_mad_u64_u32 v[3:4], s[0:1], v0, s3, v[4:5]
	v_add_co_u32_e32 v0, vcc, s14, v1
	v_addc_co_u32_e32 v1, vcc, v14, v2, vcc
	v_ashrrev_i32_e32 v4, 31, v3
	global_load_dword v2, v[0:1], off
	v_lshlrev_b64 v[0:1], 2, v[3:4]
	s_mov_b64 s[0:1], 0
	v_add_co_u32_e32 v0, vcc, s10, v0
	v_addc_co_u32_e32 v1, vcc, v15, v1, vcc
	global_load_dword v4, v[0:1], off
	v_add_co_u32_e32 v0, vcc, v16, v9
	v_addc_co_u32_e32 v1, vcc, v17, v10, vcc
	global_load_dword v3, v[0:1], off
	s_waitcnt vmcnt(2)
	v_mul_f32_e32 v2, v5, v2
	s_waitcnt vmcnt(1)
	v_mul_f32_e32 v4, v2, v4
.LBB5_2:                                ; =>This Inner Loop Header: Depth=1
	s_waitcnt vmcnt(0)
	v_add_f32_e32 v2, v3, v4
	global_atomic_cmpswap v2, v[0:1], v[2:3], off glc
	s_waitcnt vmcnt(0)
	v_cmp_eq_u32_e32 vcc, v2, v3
	s_or_b64 s[0:1], vcc, s[0:1]
	v_mov_b32_e32 v3, v2
	s_andn2_b64 exec, exec, s[0:1]
	s_cbranch_execnz .LBB5_2
.LBB5_3:
	s_endpgm
	.section	.rodata,"a",@progbits
	.p2align	6, 0x0
	.amdhsa_kernel _Z25compute_potential_indicesPfPKiPKfS3_S3_iiii
		.amdhsa_group_segment_fixed_size 0
		.amdhsa_private_segment_fixed_size 0
		.amdhsa_kernarg_size 312
		.amdhsa_user_sgpr_count 6
		.amdhsa_user_sgpr_private_segment_buffer 1
		.amdhsa_user_sgpr_dispatch_ptr 0
		.amdhsa_user_sgpr_queue_ptr 0
		.amdhsa_user_sgpr_kernarg_segment_ptr 1
		.amdhsa_user_sgpr_dispatch_id 0
		.amdhsa_user_sgpr_flat_scratch_init 0
		.amdhsa_user_sgpr_private_segment_size 0
		.amdhsa_uses_dynamic_stack 0
		.amdhsa_system_sgpr_private_segment_wavefront_offset 0
		.amdhsa_system_sgpr_workgroup_id_x 1
		.amdhsa_system_sgpr_workgroup_id_y 0
		.amdhsa_system_sgpr_workgroup_id_z 0
		.amdhsa_system_sgpr_workgroup_info 0
		.amdhsa_system_vgpr_workitem_id 0
		.amdhsa_next_free_vgpr 18
		.amdhsa_next_free_sgpr 16
		.amdhsa_reserve_vcc 1
		.amdhsa_reserve_flat_scratch 0
		.amdhsa_float_round_mode_32 0
		.amdhsa_float_round_mode_16_64 0
		.amdhsa_float_denorm_mode_32 3
		.amdhsa_float_denorm_mode_16_64 3
		.amdhsa_dx10_clamp 1
		.amdhsa_ieee_mode 1
		.amdhsa_fp16_overflow 0
		.amdhsa_exception_fp_ieee_invalid_op 0
		.amdhsa_exception_fp_denorm_src 0
		.amdhsa_exception_fp_ieee_div_zero 0
		.amdhsa_exception_fp_ieee_overflow 0
		.amdhsa_exception_fp_ieee_underflow 0
		.amdhsa_exception_fp_ieee_inexact 0
		.amdhsa_exception_int_div_zero 0
	.end_amdhsa_kernel
	.text
.Lfunc_end5:
	.size	_Z25compute_potential_indicesPfPKiPKfS3_S3_iiii, .Lfunc_end5-_Z25compute_potential_indicesPfPKiPKfS3_S3_iiii
                                        ; -- End function
	.set _Z25compute_potential_indicesPfPKiPKfS3_S3_iiii.num_vgpr, 18
	.set _Z25compute_potential_indicesPfPKiPKfS3_S3_iiii.num_agpr, 0
	.set _Z25compute_potential_indicesPfPKiPKfS3_S3_iiii.numbered_sgpr, 16
	.set _Z25compute_potential_indicesPfPKiPKfS3_S3_iiii.num_named_barrier, 0
	.set _Z25compute_potential_indicesPfPKiPKfS3_S3_iiii.private_seg_size, 0
	.set _Z25compute_potential_indicesPfPKiPKfS3_S3_iiii.uses_vcc, 1
	.set _Z25compute_potential_indicesPfPKiPKfS3_S3_iiii.uses_flat_scratch, 0
	.set _Z25compute_potential_indicesPfPKiPKfS3_S3_iiii.has_dyn_sized_stack, 0
	.set _Z25compute_potential_indicesPfPKiPKfS3_S3_iiii.has_recursion, 0
	.set _Z25compute_potential_indicesPfPKiPKfS3_S3_iiii.has_indirect_call, 0
	.section	.AMDGPU.csdata,"",@progbits
; Kernel info:
; codeLenInByte = 932
; TotalNumSgprs: 20
; NumVgprs: 18
; ScratchSize: 0
; MemoryBound: 0
; FloatMode: 240
; IeeeMode: 1
; LDSByteSize: 0 bytes/workgroup (compile time only)
; SGPRBlocks: 2
; VGPRBlocks: 4
; NumSGPRsForWavesPerEU: 20
; NumVGPRsForWavesPerEU: 18
; Occupancy: 10
; WaveLimiterHint : 1
; COMPUTE_PGM_RSRC2:SCRATCH_EN: 0
; COMPUTE_PGM_RSRC2:USER_SGPR: 6
; COMPUTE_PGM_RSRC2:TRAP_HANDLER: 0
; COMPUTE_PGM_RSRC2:TGID_X_EN: 1
; COMPUTE_PGM_RSRC2:TGID_Y_EN: 0
; COMPUTE_PGM_RSRC2:TGID_Z_EN: 0
; COMPUTE_PGM_RSRC2:TIDIG_COMP_CNT: 0
	.text
	.protected	_Z20compute_kernel_tildePVffffii ; -- Begin function _Z20compute_kernel_tildePVffffii
	.globl	_Z20compute_kernel_tildePVffffii
	.p2align	8
	.type	_Z20compute_kernel_tildePVffffii,@function
_Z20compute_kernel_tildePVffffii:       ; @_Z20compute_kernel_tildePVffffii
; %bb.0:
	s_load_dword s0, s[4:5], 0x2c
	s_load_dwordx4 s[8:11], s[4:5], 0x8
	s_waitcnt lgkmcnt(0)
	s_and_b32 s0, s0, 0xffff
	s_mul_i32 s6, s6, s0
	v_add_u32_e32 v0, s6, v0
	s_mul_i32 s0, s11, s11
	v_cmp_gt_i32_e32 vcc, s0, v0
	s_and_saveexec_b64 s[0:1], vcc
	s_cbranch_execz .LBB6_2
; %bb.1:
	s_abs_i32 s0, s11
	v_cvt_f32_u32_e32 v1, s0
	s_sub_i32 s1, 0, s0
	v_sub_u32_e32 v3, 0, v0
	v_max_i32_e32 v3, v0, v3
	v_rcp_iflag_f32_e32 v1, v1
	v_mov_b32_e32 v4, s9
	v_mov_b32_e32 v5, s8
	v_fma_f32 v5, 0.5, s10, v5
	v_mul_f32_e32 v1, 0x4f7ffffe, v1
	v_cvt_u32_f32_e32 v1, v1
	s_movk_i32 s2, 0x204
	s_mov_b32 s3, 0x3fb8aa3b
	s_load_dwordx2 s[6:7], s[4:5], 0x0
	s_load_dword s12, s[4:5], 0x18
	v_mul_lo_u32 v2, s1, v1
	s_mov_b32 s1, 0x3f2aaaab
	s_brev_b32 s8, -2
	v_mul_hi_u32 v2, v1, v2
	v_add_u32_e32 v1, v1, v2
	v_mul_hi_u32 v1, v3, v1
	v_xor_b32_e32 v2, s11, v0
	v_ashrrev_i32_e32 v2, 31, v2
	v_mul_lo_u32 v6, v1, s0
	v_add_u32_e32 v7, 1, v1
	v_sub_u32_e32 v3, v3, v6
	v_cmp_le_u32_e32 vcc, s0, v3
	v_subrev_u32_e32 v6, s0, v3
	v_cndmask_b32_e32 v1, v1, v7, vcc
	v_cndmask_b32_e32 v3, v3, v6, vcc
	v_add_u32_e32 v6, 1, v1
	v_cmp_le_u32_e32 vcc, s0, v3
	v_cndmask_b32_e32 v1, v1, v6, vcc
	v_xor_b32_e32 v1, v1, v2
	v_sub_u32_e32 v1, v1, v2
	v_mul_lo_u32 v2, v1, s11
	v_fma_f32 v3, 0.5, s10, v4
	v_cvt_f32_i32_e32 v4, v1
	s_mov_b32 s0, 0x3f317218
	v_sub_u32_e32 v0, v0, v2
	v_cvt_f32_i32_e32 v6, v0
	v_fma_f32 v2, s10, v4, v3
	v_sub_f32_e32 v2, v3, v2
	v_fma_f32 v2, v2, v2, 1.0
	v_fma_f32 v3, s10, v6, v5
	v_sub_f32_e32 v3, v5, v3
	v_fmac_f32_e32 v2, v3, v3
	v_cmp_eq_f32_e32 vcc, 1.0, v2
	v_frexp_mant_f32_e64 v4, |v2|
	v_cndmask_b32_e64 v3, -2.0, 1.0, vcc
	v_cmp_gt_f32_e32 vcc, s1, v4
	v_cndmask_b32_e64 v5, 1.0, 2.0, vcc
	v_mul_f32_e32 v4, v4, v5
	v_add_f32_e32 v5, 1.0, v4
	v_rcp_f32_e32 v6, v5
	v_add_f32_e32 v7, -1.0, v4
	v_add_f32_e32 v8, -1.0, v5
	v_sub_f32_e32 v4, v4, v8
	v_mul_f32_e32 v8, v7, v6
	v_mul_f32_e32 v9, v5, v8
	v_fma_f32 v5, v8, v5, -v9
	v_fmac_f32_e32 v5, v8, v4
	v_add_f32_e32 v4, v9, v5
	v_sub_f32_e32 v10, v7, v4
	v_sub_f32_e32 v9, v4, v9
	;; [unrolled: 1-line block ×5, first 2 shown]
	v_add_f32_e32 v4, v5, v4
	v_add_f32_e32 v4, v10, v4
	v_mul_f32_e32 v4, v6, v4
	v_add_f32_e32 v6, v8, v4
	v_sub_f32_e32 v5, v6, v8
	v_mul_f32_e32 v7, v6, v6
	v_sub_f32_e32 v8, v4, v5
	v_fma_f32 v4, v6, v6, -v7
	v_add_f32_e32 v5, v8, v8
	v_fmac_f32_e32 v4, v6, v5
	v_add_f32_e32 v5, v7, v4
	v_mov_b32_e32 v9, 0x3e91f4c4
	v_sub_f32_e32 v7, v5, v7
	v_fmac_f32_e32 v9, 0x3e76c4e1, v5
	v_mov_b32_e32 v10, 0x3ecccdef
	v_sub_f32_e32 v4, v4, v7
	v_mul_f32_e32 v7, v6, v5
	v_fmac_f32_e32 v10, v5, v9
	v_fma_f32 v9, v5, v6, -v7
	v_fmac_f32_e32 v9, v5, v8
	v_fmac_f32_e32 v9, v4, v6
	v_add_f32_e32 v11, v7, v9
	v_sub_f32_e32 v7, v11, v7
	v_sub_f32_e32 v7, v9, v7
	v_mul_f32_e32 v9, v5, v10
	v_fma_f32 v5, v5, v10, -v9
	v_fmac_f32_e32 v5, v4, v10
	v_add_f32_e32 v10, v9, v5
	v_sub_f32_e32 v4, v10, v9
	v_sub_f32_e32 v9, v5, v4
	v_cvt_f64_f32_e64 v[4:5], |v2|
	v_add_f32_e32 v12, 0x3f2aaaaa, v10
	v_add_f32_e32 v13, 0xbf2aaaaa, v12
	;; [unrolled: 1-line block ×3, first 2 shown]
	v_frexp_exp_i32_f64_e32 v4, v[4:5]
	v_sub_f32_e32 v10, v10, v13
	v_add_f32_e32 v5, v9, v10
	v_add_f32_e32 v9, v12, v5
	v_sub_f32_e32 v10, v12, v9
	v_add_f32_e32 v5, v5, v10
	v_mul_f32_e32 v10, v11, v9
	v_fma_f32 v12, v11, v9, -v10
	v_subbrev_co_u32_e32 v4, vcc, 0, v4, vcc
	v_cvt_f32_i32_e32 v4, v4
	v_fmac_f32_e32 v12, v11, v5
	v_fmac_f32_e32 v12, v7, v9
	v_ldexp_f32 v6, v6, 1
	v_mul_f32_e32 v5, 0x3f317218, v4
	v_fma_f32 v7, v4, s0, -v5
	v_fmac_f32_e32 v7, 0xb102e308, v4
	v_ldexp_f32 v4, v8, 1
	v_add_f32_e32 v8, v5, v7
	v_sub_f32_e32 v5, v8, v5
	v_sub_f32_e32 v5, v7, v5
	v_add_f32_e32 v7, v10, v12
	v_sub_f32_e32 v9, v7, v10
	v_add_f32_e32 v10, v6, v7
	v_sub_f32_e32 v9, v12, v9
	v_sub_f32_e32 v6, v10, v6
	;; [unrolled: 1-line block ×3, first 2 shown]
	v_add_f32_e32 v4, v4, v9
	v_add_f32_e32 v4, v4, v6
	;; [unrolled: 1-line block ×3, first 2 shown]
	v_sub_f32_e32 v7, v6, v10
	v_sub_f32_e32 v4, v4, v7
	v_add_f32_e32 v7, v8, v6
	v_sub_f32_e32 v9, v7, v8
	v_sub_f32_e32 v10, v7, v9
	;; [unrolled: 1-line block ×4, first 2 shown]
	v_add_f32_e32 v6, v6, v8
	v_add_f32_e32 v8, v5, v4
	v_sub_f32_e32 v9, v8, v5
	v_sub_f32_e32 v10, v8, v9
	;; [unrolled: 1-line block ×4, first 2 shown]
	v_add_f32_e32 v4, v4, v5
	v_add_f32_e32 v5, v8, v6
	;; [unrolled: 1-line block ×3, first 2 shown]
	v_sub_f32_e32 v7, v6, v7
	v_sub_f32_e32 v5, v5, v7
	v_add_f32_e32 v4, v4, v5
	v_add_f32_e32 v5, v6, v4
	v_sub_f32_e32 v6, v5, v6
	v_sub_f32_e32 v4, v4, v6
	v_mul_f32_e32 v6, v3, v5
	v_fma_f32 v5, v3, v5, -v6
	v_fmac_f32_e32 v5, v3, v4
	v_add_f32_e32 v4, v6, v5
	v_cmp_class_f32_e64 vcc, v6, s2
	v_sub_f32_e32 v7, v4, v6
	v_cndmask_b32_e32 v4, v4, v6, vcc
	s_mov_b32 s1, 0x42b17218
	v_mov_b32_e32 v6, 0x37000000
	v_cmp_eq_f32_e32 vcc, s1, v4
	v_cndmask_b32_e32 v6, 0, v6, vcc
	v_sub_f32_e32 v5, v5, v7
	v_sub_f32_e32 v7, v4, v6
	v_mul_f32_e32 v8, 0x3fb8aa3b, v7
	v_fma_f32 v9, v7, s3, -v8
	v_rndne_f32_e32 v10, v8
	v_fmac_f32_e32 v9, 0x32a5705f, v7
	v_sub_f32_e32 v8, v8, v10
	v_add_f32_e32 v8, v8, v9
	v_exp_f32_e32 v8, v8
	v_cvt_i32_f32_e32 v9, v10
	s_mov_b32 s0, 0x7f800000
	v_cmp_neq_f32_e64 vcc, |v4|, s0
	s_mov_b32 s0, 0xc2ce8ed0
	v_cndmask_b32_e32 v4, 0, v5, vcc
	v_ldexp_f32 v5, v8, v9
	v_cmp_ngt_f32_e32 vcc, s0, v7
	v_add_f32_e32 v4, v6, v4
	v_cndmask_b32_e32 v5, 0, v5, vcc
	v_mov_b32_e32 v6, 0x7f800000
	v_cmp_nlt_f32_e32 vcc, s1, v7
	v_cndmask_b32_e32 v5, v6, v5, vcc
	v_fma_f32 v4, v5, v4, v5
	v_cmp_class_f32_e64 vcc, v5, s2
	v_cndmask_b32_e32 v4, v4, v5, vcc
	v_trunc_f32_e32 v5, v3
	v_cmp_eq_f32_e32 vcc, v5, v3
	v_mul_f32_e32 v5, 0.5, v3
	v_trunc_f32_e32 v7, v5
	v_cmp_neq_f32_e64 s[0:1], v7, v5
	s_and_b64 vcc, vcc, s[0:1]
	v_cmp_class_f32_e64 s[4:5], v2, s2
	v_cmp_eq_f32_e64 s[0:1], 0, v2
	v_cmp_gt_f32_e64 s[2:3], 0, v3
	v_cndmask_b32_e32 v5, 1.0, v2, vcc
	s_xor_b64 s[2:3], s[0:1], s[2:3]
	v_bfi_b32 v4, s8, v4, v5
	v_cndmask_b32_e64 v3, v6, 0, s[2:3]
	v_cndmask_b32_e32 v5, 0, v2, vcc
	v_bfi_b32 v3, s8, v3, v5
	v_add_u32_e32 v5, s11, v1
	s_waitcnt lgkmcnt(0)
	v_mul_lo_u32 v5, v5, s12
	s_or_b64 vcc, s[0:1], s[4:5]
	v_add_u32_e32 v6, s11, v0
	v_cndmask_b32_e32 v3, v4, v3, vcc
	v_mov_b32_e32 v4, 0x7fc00000
	v_cmp_o_f32_e32 vcc, v2, v2
	v_add_u32_e32 v2, v5, v6
	v_cndmask_b32_e32 v4, v4, v3, vcc
	v_ashrrev_i32_e32 v3, 31, v2
	v_sub_u32_e32 v1, s11, v1
	v_lshlrev_b64 v[2:3], 2, v[2:3]
	v_mul_lo_u32 v8, v1, s12
	v_mov_b32_e32 v7, s7
	v_add_co_u32_e32 v1, vcc, s6, v2
	v_addc_co_u32_e32 v2, vcc, v7, v3, vcc
	flat_store_dword v[1:2], v4
	s_waitcnt vmcnt(0)
	v_add_u32_e32 v1, v8, v6
	v_ashrrev_i32_e32 v2, 31, v1
	v_lshlrev_b64 v[1:2], 2, v[1:2]
	v_mov_b32_e32 v3, s7
	v_add_co_u32_e32 v1, vcc, s6, v1
	v_addc_co_u32_e32 v2, vcc, v3, v2, vcc
	flat_store_dword v[1:2], v4
	s_waitcnt vmcnt(0)
	v_sub_u32_e32 v2, s11, v0
	v_add_u32_e32 v0, v5, v2
	v_ashrrev_i32_e32 v1, 31, v0
	v_lshlrev_b64 v[0:1], 2, v[0:1]
	v_add_co_u32_e32 v0, vcc, s6, v0
	v_addc_co_u32_e32 v1, vcc, v3, v1, vcc
	flat_store_dword v[0:1], v4
	s_waitcnt vmcnt(0)
	v_add_u32_e32 v0, v8, v2
	v_ashrrev_i32_e32 v1, 31, v0
	v_lshlrev_b64 v[0:1], 2, v[0:1]
	v_mov_b32_e32 v2, s7
	v_add_co_u32_e32 v0, vcc, s6, v0
	v_addc_co_u32_e32 v1, vcc, v2, v1, vcc
	flat_store_dword v[0:1], v4
	s_waitcnt vmcnt(0)
.LBB6_2:
	s_endpgm
	.section	.rodata,"a",@progbits
	.p2align	6, 0x0
	.amdhsa_kernel _Z20compute_kernel_tildePVffffii
		.amdhsa_group_segment_fixed_size 0
		.amdhsa_private_segment_fixed_size 0
		.amdhsa_kernarg_size 288
		.amdhsa_user_sgpr_count 6
		.amdhsa_user_sgpr_private_segment_buffer 1
		.amdhsa_user_sgpr_dispatch_ptr 0
		.amdhsa_user_sgpr_queue_ptr 0
		.amdhsa_user_sgpr_kernarg_segment_ptr 1
		.amdhsa_user_sgpr_dispatch_id 0
		.amdhsa_user_sgpr_flat_scratch_init 0
		.amdhsa_user_sgpr_private_segment_size 0
		.amdhsa_uses_dynamic_stack 0
		.amdhsa_system_sgpr_private_segment_wavefront_offset 0
		.amdhsa_system_sgpr_workgroup_id_x 1
		.amdhsa_system_sgpr_workgroup_id_y 0
		.amdhsa_system_sgpr_workgroup_id_z 0
		.amdhsa_system_sgpr_workgroup_info 0
		.amdhsa_system_vgpr_workitem_id 0
		.amdhsa_next_free_vgpr 14
		.amdhsa_next_free_sgpr 13
		.amdhsa_reserve_vcc 1
		.amdhsa_reserve_flat_scratch 0
		.amdhsa_float_round_mode_32 0
		.amdhsa_float_round_mode_16_64 0
		.amdhsa_float_denorm_mode_32 3
		.amdhsa_float_denorm_mode_16_64 3
		.amdhsa_dx10_clamp 1
		.amdhsa_ieee_mode 1
		.amdhsa_fp16_overflow 0
		.amdhsa_exception_fp_ieee_invalid_op 0
		.amdhsa_exception_fp_denorm_src 0
		.amdhsa_exception_fp_ieee_div_zero 0
		.amdhsa_exception_fp_ieee_overflow 0
		.amdhsa_exception_fp_ieee_underflow 0
		.amdhsa_exception_fp_ieee_inexact 0
		.amdhsa_exception_int_div_zero 0
	.end_amdhsa_kernel
	.text
.Lfunc_end6:
	.size	_Z20compute_kernel_tildePVffffii, .Lfunc_end6-_Z20compute_kernel_tildePVffffii
                                        ; -- End function
	.set _Z20compute_kernel_tildePVffffii.num_vgpr, 14
	.set _Z20compute_kernel_tildePVffffii.num_agpr, 0
	.set _Z20compute_kernel_tildePVffffii.numbered_sgpr, 13
	.set _Z20compute_kernel_tildePVffffii.num_named_barrier, 0
	.set _Z20compute_kernel_tildePVffffii.private_seg_size, 0
	.set _Z20compute_kernel_tildePVffffii.uses_vcc, 1
	.set _Z20compute_kernel_tildePVffffii.uses_flat_scratch, 0
	.set _Z20compute_kernel_tildePVffffii.has_dyn_sized_stack, 0
	.set _Z20compute_kernel_tildePVffffii.has_recursion, 0
	.set _Z20compute_kernel_tildePVffffii.has_indirect_call, 0
	.section	.AMDGPU.csdata,"",@progbits
; Kernel info:
; codeLenInByte = 1312
; TotalNumSgprs: 17
; NumVgprs: 14
; ScratchSize: 0
; MemoryBound: 0
; FloatMode: 240
; IeeeMode: 1
; LDSByteSize: 0 bytes/workgroup (compile time only)
; SGPRBlocks: 2
; VGPRBlocks: 3
; NumSGPRsForWavesPerEU: 17
; NumVGPRsForWavesPerEU: 14
; Occupancy: 10
; WaveLimiterHint : 0
; COMPUTE_PGM_RSRC2:SCRATCH_EN: 0
; COMPUTE_PGM_RSRC2:USER_SGPR: 6
; COMPUTE_PGM_RSRC2:TRAP_HANDLER: 0
; COMPUTE_PGM_RSRC2:TGID_X_EN: 1
; COMPUTE_PGM_RSRC2:TGID_Y_EN: 0
; COMPUTE_PGM_RSRC2:TGID_Z_EN: 0
; COMPUTE_PGM_RSRC2:TIDIG_COMP_CNT: 0
	.text
	.protected	_Z30compute_upper_and_lower_boundsPVfS0_fffii ; -- Begin function _Z30compute_upper_and_lower_boundsPVfS0_fffii
	.globl	_Z30compute_upper_and_lower_boundsPVfS0_fffii
	.p2align	8
	.type	_Z30compute_upper_and_lower_boundsPVfS0_fffii,@function
_Z30compute_upper_and_lower_boundsPVfS0_fffii: ; @_Z30compute_upper_and_lower_boundsPVfS0_fffii
; %bb.0:
	s_load_dword s7, s[4:5], 0x34
	s_load_dwordx4 s[0:3], s[4:5], 0x10
	s_waitcnt lgkmcnt(0)
	s_and_b32 s7, s7, 0xffff
	s_mul_i32 s6, s6, s7
	v_add_u32_e32 v0, s6, v0
	s_mul_i32 s6, s3, s3
	v_cmp_gt_i32_e32 vcc, s6, v0
	s_and_saveexec_b64 s[6:7], vcc
	s_cbranch_execz .LBB7_2
; %bb.1:
	s_abs_i32 s6, s3
	v_cvt_f32_u32_e32 v1, s6
	s_sub_i32 s7, 0, s6
	v_sub_u32_e32 v4, 0, v0
	v_max_i32_e32 v4, v0, v4
	v_rcp_iflag_f32_e32 v1, v1
	v_xor_b32_e32 v3, s3, v0
	v_ashrrev_i32_e32 v3, 31, v3
	v_mov_b32_e32 v5, s1
	v_mul_f32_e32 v1, 0x4f7ffffe, v1
	v_cvt_u32_f32_e32 v1, v1
	v_mul_lo_u32 v2, s7, v1
	s_load_dwordx4 s[8:11], s[4:5], 0x0
	s_load_dword s7, s[4:5], 0x20
	v_mul_hi_u32 v2, v1, v2
	s_waitcnt lgkmcnt(0)
	v_mov_b32_e32 v8, s11
	v_mov_b32_e32 v9, s9
	v_add_u32_e32 v1, v1, v2
	v_mul_hi_u32 v6, v4, v1
	v_ashrrev_i32_e32 v1, 31, v0
	v_lshlrev_b64 v[1:2], 2, v[0:1]
	v_mul_lo_u32 v7, v6, s6
	v_add_u32_e32 v10, 1, v6
	v_sub_u32_e32 v4, v4, v7
	v_cmp_le_u32_e32 vcc, s6, v4
	v_subrev_u32_e32 v7, s6, v4
	v_cndmask_b32_e32 v6, v6, v10, vcc
	v_cndmask_b32_e32 v4, v4, v7, vcc
	v_add_u32_e32 v7, 1, v6
	v_cmp_le_u32_e32 vcc, s6, v4
	v_cndmask_b32_e32 v4, v6, v7, vcc
	v_xor_b32_e32 v4, v4, v3
	v_sub_u32_e32 v6, v4, v3
	v_mul_lo_u32 v7, v6, s3
	v_add_co_u32_e32 v3, vcc, s10, v1
	v_addc_co_u32_e32 v4, vcc, v8, v2, vcc
	v_sub_u32_e32 v7, v0, v7
	v_cvt_f32_i32_e32 v8, v7
	v_add_u32_e32 v7, 1, v7
	v_cvt_f32_i32_e32 v7, v7
	v_add_co_u32_e32 v1, vcc, s8, v1
	v_fma_f32 v8, s0, v8, v5
	flat_store_dword v[3:4], v8
	s_waitcnt vmcnt(0)
	v_fma_f32 v3, s0, v7, v5
	v_addc_co_u32_e32 v2, vcc, v9, v2, vcc
	v_add_u32_e32 v0, s7, v0
	v_cvt_f32_i32_e32 v10, v6
	flat_store_dword v[1:2], v3
	s_waitcnt vmcnt(0)
	v_ashrrev_i32_e32 v1, 31, v0
	v_lshlrev_b64 v[0:1], 2, v[0:1]
	v_add_u32_e32 v2, 1, v6
	v_cvt_f32_i32_e32 v6, v2
	v_mov_b32_e32 v4, s2
	v_mov_b32_e32 v3, s11
	v_add_co_u32_e32 v2, vcc, s10, v0
	v_fma_f32 v5, s0, v10, v4
	v_addc_co_u32_e32 v3, vcc, v3, v1, vcc
	flat_store_dword v[2:3], v5
	s_waitcnt vmcnt(0)
	v_mov_b32_e32 v3, s9
	v_add_co_u32_e32 v0, vcc, s8, v0
	v_fma_f32 v2, s0, v6, v4
	v_addc_co_u32_e32 v1, vcc, v3, v1, vcc
	flat_store_dword v[0:1], v2
	s_waitcnt vmcnt(0)
.LBB7_2:
	s_endpgm
	.section	.rodata,"a",@progbits
	.p2align	6, 0x0
	.amdhsa_kernel _Z30compute_upper_and_lower_boundsPVfS0_fffii
		.amdhsa_group_segment_fixed_size 0
		.amdhsa_private_segment_fixed_size 0
		.amdhsa_kernarg_size 296
		.amdhsa_user_sgpr_count 6
		.amdhsa_user_sgpr_private_segment_buffer 1
		.amdhsa_user_sgpr_dispatch_ptr 0
		.amdhsa_user_sgpr_queue_ptr 0
		.amdhsa_user_sgpr_kernarg_segment_ptr 1
		.amdhsa_user_sgpr_dispatch_id 0
		.amdhsa_user_sgpr_flat_scratch_init 0
		.amdhsa_user_sgpr_private_segment_size 0
		.amdhsa_uses_dynamic_stack 0
		.amdhsa_system_sgpr_private_segment_wavefront_offset 0
		.amdhsa_system_sgpr_workgroup_id_x 1
		.amdhsa_system_sgpr_workgroup_id_y 0
		.amdhsa_system_sgpr_workgroup_id_z 0
		.amdhsa_system_sgpr_workgroup_info 0
		.amdhsa_system_vgpr_workitem_id 0
		.amdhsa_next_free_vgpr 11
		.amdhsa_next_free_sgpr 12
		.amdhsa_reserve_vcc 1
		.amdhsa_reserve_flat_scratch 0
		.amdhsa_float_round_mode_32 0
		.amdhsa_float_round_mode_16_64 0
		.amdhsa_float_denorm_mode_32 3
		.amdhsa_float_denorm_mode_16_64 3
		.amdhsa_dx10_clamp 1
		.amdhsa_ieee_mode 1
		.amdhsa_fp16_overflow 0
		.amdhsa_exception_fp_ieee_invalid_op 0
		.amdhsa_exception_fp_denorm_src 0
		.amdhsa_exception_fp_ieee_div_zero 0
		.amdhsa_exception_fp_ieee_overflow 0
		.amdhsa_exception_fp_ieee_underflow 0
		.amdhsa_exception_fp_ieee_inexact 0
		.amdhsa_exception_int_div_zero 0
	.end_amdhsa_kernel
	.text
.Lfunc_end7:
	.size	_Z30compute_upper_and_lower_boundsPVfS0_fffii, .Lfunc_end7-_Z30compute_upper_and_lower_boundsPVfS0_fffii
                                        ; -- End function
	.set _Z30compute_upper_and_lower_boundsPVfS0_fffii.num_vgpr, 11
	.set _Z30compute_upper_and_lower_boundsPVfS0_fffii.num_agpr, 0
	.set _Z30compute_upper_and_lower_boundsPVfS0_fffii.numbered_sgpr, 12
	.set _Z30compute_upper_and_lower_boundsPVfS0_fffii.num_named_barrier, 0
	.set _Z30compute_upper_and_lower_boundsPVfS0_fffii.private_seg_size, 0
	.set _Z30compute_upper_and_lower_boundsPVfS0_fffii.uses_vcc, 1
	.set _Z30compute_upper_and_lower_boundsPVfS0_fffii.uses_flat_scratch, 0
	.set _Z30compute_upper_and_lower_boundsPVfS0_fffii.has_dyn_sized_stack, 0
	.set _Z30compute_upper_and_lower_boundsPVfS0_fffii.has_recursion, 0
	.set _Z30compute_upper_and_lower_boundsPVfS0_fffii.has_indirect_call, 0
	.section	.AMDGPU.csdata,"",@progbits
; Kernel info:
; codeLenInByte = 400
; TotalNumSgprs: 16
; NumVgprs: 11
; ScratchSize: 0
; MemoryBound: 0
; FloatMode: 240
; IeeeMode: 1
; LDSByteSize: 0 bytes/workgroup (compile time only)
; SGPRBlocks: 1
; VGPRBlocks: 2
; NumSGPRsForWavesPerEU: 16
; NumVGPRsForWavesPerEU: 11
; Occupancy: 10
; WaveLimiterHint : 0
; COMPUTE_PGM_RSRC2:SCRATCH_EN: 0
; COMPUTE_PGM_RSRC2:USER_SGPR: 6
; COMPUTE_PGM_RSRC2:TRAP_HANDLER: 0
; COMPUTE_PGM_RSRC2:TGID_X_EN: 1
; COMPUTE_PGM_RSRC2:TGID_Y_EN: 0
; COMPUTE_PGM_RSRC2:TGID_Z_EN: 0
; COMPUTE_PGM_RSRC2:TIDIG_COMP_CNT: 0
	.text
	.protected	_Z9DFT2D1gpuPfPN6thrust23THRUST_200600_302600_NS7complexIfEEii ; -- Begin function _Z9DFT2D1gpuPfPN6thrust23THRUST_200600_302600_NS7complexIfEEii
	.globl	_Z9DFT2D1gpuPfPN6thrust23THRUST_200600_302600_NS7complexIfEEii
	.p2align	8
	.type	_Z9DFT2D1gpuPfPN6thrust23THRUST_200600_302600_NS7complexIfEEii,@function
_Z9DFT2D1gpuPfPN6thrust23THRUST_200600_302600_NS7complexIfEEii: ; @_Z9DFT2D1gpuPfPN6thrust23THRUST_200600_302600_NS7complexIfEEii
; %bb.0:
	s_load_dword s0, s[4:5], 0x24
	s_load_dwordx2 s[8:9], s[4:5], 0x10
	s_waitcnt lgkmcnt(0)
	s_lshr_b32 s1, s0, 16
	s_and_b32 s0, s0, 0xffff
	s_mul_i32 s7, s7, s1
	s_mul_i32 s6, s6, s0
	v_add_u32_e32 v1, s7, v1
	v_add_u32_e32 v0, s6, v0
	v_cmp_gt_i32_e32 vcc, s8, v1
	v_cmp_gt_i32_e64 s[0:1], s9, v0
	s_and_b64 s[0:1], vcc, s[0:1]
	s_and_saveexec_b64 s[2:3], s[0:1]
	s_cbranch_execz .LBB8_10
; %bb.1:
	s_load_dwordx4 s[4:7], s[4:5], 0x0
	s_cmp_lt_i32 s9, 1
	s_cbranch_scc1 .LBB8_8
; %bb.2:
	v_cvt_f32_i32_e32 v2, v0
	v_cvt_f32_i32_e32 v4, s9
	v_mov_b32_e32 v3, 0
	s_mov_b32 s12, 0
	s_brev_b32 s13, 18
	v_div_scale_f32 v5, s[0:1], v4, v4, v2
	v_div_scale_f32 v6, vcc, v2, v4, v2
	s_mov_b32 s14, 0xfe5163ab
	s_mov_b32 s15, 0x3c439041
	;; [unrolled: 1-line block ×10, first 2 shown]
	s_movk_i32 s24, 0x1f8
	v_mov_b32_e32 v10, 0x7fc00000
	v_rcp_f32_e32 v7, v5
	v_fma_f32 v8, -v5, v7, 1.0
	v_fmac_f32_e32 v7, v8, v7
	v_mul_f32_e32 v8, v6, v7
	v_fma_f32 v9, -v5, v8, v6
	v_fmac_f32_e32 v8, v9, v7
	v_fma_f32 v5, -v5, v8, v6
	v_div_fmas_f32 v11, v5, v7, v8
	v_mov_b32_e32 v6, 0x3d2aabf7
	v_mov_b32_e32 v7, 0xbf000004
	v_not_b32_e32 v8, 63
	v_not_b32_e32 v9, 31
	v_mov_b32_e32 v5, 0
	v_div_fixup_f32 v2, v11, v4, v2
	v_mul_f32_e32 v11, 0xc0c90fdb, v2
	v_mov_b32_e32 v4, 0
	s_branch .LBB8_4
.LBB8_3:                                ;   in Loop: Header=BB8_4 Depth=1
	s_or_b64 exec, exec, s[0:1]
	v_mul_lo_u32 v15, v1, s9
	s_waitcnt lgkmcnt(0)
	v_mov_b32_e32 v17, s5
	v_mov_b32_e32 v18, 0xbab64f3b
	;; [unrolled: 1-line block ×3, first 2 shown]
	v_add_u32_e32 v15, s12, v15
	v_ashrrev_i32_e32 v16, 31, v15
	v_lshlrev_b64 v[15:16], 2, v[15:16]
	v_lshlrev_b32_e32 v19, 30, v14
	v_add_co_u32_e32 v15, vcc, s4, v15
	v_addc_co_u32_e32 v16, vcc, v17, v16, vcc
	global_load_dword v15, v[15:16], off
	v_mul_f32_e32 v16, v2, v2
	v_mov_b32_e32 v17, 0x3c0881c4
	v_fmac_f32_e32 v17, 0xb94c1982, v16
	v_fmac_f32_e32 v18, 0x37d75334, v16
	v_fma_f32 v17, v16, v17, v20
	v_fma_f32 v18, v16, v18, v6
	v_and_b32_e32 v14, 1, v14
	v_mul_f32_e32 v17, v16, v17
	v_fma_f32 v18, v16, v18, v7
	v_fmac_f32_e32 v2, v2, v17
	v_fma_f32 v16, v16, v18, 1.0
	v_cmp_eq_u32_e32 vcc, 0, v14
	v_xor_b32_e32 v13, v13, v12
	v_cndmask_b32_e32 v14, v16, v2, vcc
	v_xor_b32_e32 v2, 0x80000000, v2
	v_and_b32_e32 v19, 0x80000000, v19
	v_xor_b32_e32 v13, v13, v14
	v_cndmask_b32_e32 v2, v2, v16, vcc
	v_xor_b32_e32 v13, v13, v19
	v_xor_b32_e32 v2, v2, v19
	v_cmp_class_f32_e64 vcc, v12, s24
	s_add_i32 s12, s12, 1
	v_cndmask_b32_e32 v2, v10, v2, vcc
	v_cndmask_b32_e32 v12, v10, v13, vcc
	s_cmp_eq_u32 s9, s12
	s_waitcnt vmcnt(0)
	v_fmac_f32_e32 v4, v15, v2
	v_fmac_f32_e32 v5, v15, v12
	s_cbranch_scc1 .LBB8_9
.LBB8_4:                                ; =>This Inner Loop Header: Depth=1
	v_cvt_f32_u32_e32 v2, s12
                                        ; implicit-def: $vgpr14
	v_mul_f32_e32 v12, v11, v2
	v_and_b32_e32 v13, 0x7fffffff, v12
	v_cmp_nlt_f32_e64 s[0:1], |v12|, s13
                                        ; implicit-def: $vgpr2
	s_and_saveexec_b64 s[2:3], s[0:1]
	s_xor_b64 s[10:11], exec, s[2:3]
	s_cbranch_execz .LBB8_6
; %bb.5:                                ;   in Loop: Header=BB8_4 Depth=1
	v_and_b32_e32 v2, 0x7fffff, v13
	v_or_b32_e32 v21, 0x800000, v2
	v_mad_u64_u32 v[14:15], s[0:1], v21, s14, 0
	v_mov_b32_e32 v2, v15
	v_mad_u64_u32 v[15:16], s[0:1], v21, s15, v[2:3]
	v_mov_b32_e32 v2, v16
	;; [unrolled: 2-line block ×3, first 2 shown]
	v_mad_u64_u32 v[17:18], s[0:1], v21, s17, v[2:3]
	v_lshrrev_b32_e32 v2, 23, v13
	v_add_u32_e32 v20, 0xffffff88, v2
	v_mov_b32_e32 v2, v18
	v_mad_u64_u32 v[18:19], s[0:1], v21, s18, v[2:3]
	v_cmp_lt_u32_e32 vcc, 63, v20
	v_cndmask_b32_e32 v2, 0, v8, vcc
	v_add_u32_e32 v22, v2, v20
	v_mov_b32_e32 v2, v19
	v_mad_u64_u32 v[19:20], s[0:1], v21, s19, v[2:3]
	v_cmp_lt_u32_e64 s[0:1], 31, v22
	v_cndmask_b32_e64 v2, 0, v9, s[0:1]
	v_add_u32_e32 v22, v2, v22
	v_mov_b32_e32 v2, v20
	v_mad_u64_u32 v[20:21], s[2:3], v21, s20, v[2:3]
	v_cndmask_b32_e32 v14, v16, v14, vcc
	v_cndmask_b32_e32 v2, v17, v15, vcc
	;; [unrolled: 1-line block ×6, first 2 shown]
	v_cmp_lt_u32_e32 vcc, 31, v22
	v_cndmask_b32_e32 v19, 0, v9, vcc
	v_add_u32_e32 v19, v19, v22
	v_cndmask_b32_e64 v20, v18, v16, s[0:1]
	v_cndmask_b32_e64 v17, v17, v18, s[0:1]
	;; [unrolled: 1-line block ×3, first 2 shown]
	v_cndmask_b32_e32 v17, v17, v20, vcc
	v_cndmask_b32_e32 v18, v20, v16, vcc
	v_sub_u32_e32 v20, 32, v19
	v_cndmask_b32_e64 v15, v15, v2, s[0:1]
	v_alignbit_b32 v21, v17, v18, v20
	v_cmp_eq_u32_e64 s[2:3], 0, v19
	v_cndmask_b32_e32 v16, v16, v15, vcc
	v_cndmask_b32_e64 v17, v21, v17, s[2:3]
	v_alignbit_b32 v19, v18, v16, v20
	v_cndmask_b32_e64 v18, v19, v18, s[2:3]
	v_cndmask_b32_e64 v2, v2, v14, s[0:1]
	v_bfe_u32 v14, v17, 29, 1
	v_alignbit_b32 v19, v17, v18, 30
	v_cndmask_b32_e32 v2, v15, v2, vcc
	v_sub_u32_e32 v15, 0, v14
	v_xor_b32_e32 v19, v19, v15
	v_alignbit_b32 v20, v16, v2, v20
	v_cndmask_b32_e64 v16, v20, v16, s[2:3]
	v_ffbh_u32_e32 v20, v19
	v_alignbit_b32 v18, v18, v16, 30
	v_min_u32_e32 v20, 32, v20
	v_alignbit_b32 v2, v16, v2, 30
	v_xor_b32_e32 v18, v18, v15
	v_sub_u32_e32 v16, 31, v20
	v_xor_b32_e32 v2, v2, v15
	v_alignbit_b32 v19, v19, v18, v16
	v_alignbit_b32 v2, v18, v2, v16
	;; [unrolled: 1-line block ×3, first 2 shown]
	v_ffbh_u32_e32 v16, v15
	v_min_u32_e32 v16, 32, v16
	v_not_b32_e32 v18, v16
	v_alignbit_b32 v2, v15, v2, v18
	v_lshrrev_b32_e32 v15, 29, v17
	v_lshlrev_b32_e32 v15, 31, v15
	v_or_b32_e32 v18, 0x33000000, v15
	v_add_lshl_u32 v16, v16, v20, 23
	v_lshrrev_b32_e32 v2, 9, v2
	v_sub_u32_e32 v16, v18, v16
	v_or_b32_e32 v15, 0.5, v15
	v_lshlrev_b32_e32 v18, 23, v20
	v_or_b32_e32 v2, v16, v2
	v_lshrrev_b32_e32 v16, 9, v19
	v_sub_u32_e32 v15, v15, v18
	v_or_b32_e32 v15, v16, v15
	v_mul_f32_e32 v16, 0x3fc90fda, v15
	v_fma_f32 v18, v15, s21, -v16
	v_fmac_f32_e32 v18, 0x33a22168, v15
	v_fmac_f32_e32 v18, 0x3fc90fda, v2
	v_lshrrev_b32_e32 v15, 30, v17
	v_add_f32_e32 v2, v16, v18
	v_add_u32_e32 v14, v14, v15
.LBB8_6:                                ;   in Loop: Header=BB8_4 Depth=1
	s_andn2_saveexec_b64 s[0:1], s[10:11]
	s_cbranch_execz .LBB8_3
; %bb.7:                                ;   in Loop: Header=BB8_4 Depth=1
	v_mul_f32_e64 v2, |v12|, s22
	v_rndne_f32_e32 v15, v2
	v_cvt_i32_f32_e32 v14, v15
	v_fma_f32 v2, v15, s23, |v12|
	v_fmac_f32_e32 v2, 0xb3a22168, v15
	v_fmac_f32_e32 v2, 0xa7c234c4, v15
	s_branch .LBB8_3
.LBB8_8:
	v_mov_b32_e32 v5, 0
	v_mov_b32_e32 v4, 0
.LBB8_9:
	v_mad_u64_u32 v[0:1], s[0:1], v0, s8, v[1:2]
	s_waitcnt lgkmcnt(0)
	v_mov_b32_e32 v2, s7
	v_ashrrev_i32_e32 v1, 31, v0
	v_lshlrev_b64 v[0:1], 3, v[0:1]
	v_add_co_u32_e32 v0, vcc, s6, v0
	v_addc_co_u32_e32 v1, vcc, v2, v1, vcc
	global_store_dwordx2 v[0:1], v[4:5], off
.LBB8_10:
	s_endpgm
	.section	.rodata,"a",@progbits
	.p2align	6, 0x0
	.amdhsa_kernel _Z9DFT2D1gpuPfPN6thrust23THRUST_200600_302600_NS7complexIfEEii
		.amdhsa_group_segment_fixed_size 0
		.amdhsa_private_segment_fixed_size 0
		.amdhsa_kernarg_size 280
		.amdhsa_user_sgpr_count 6
		.amdhsa_user_sgpr_private_segment_buffer 1
		.amdhsa_user_sgpr_dispatch_ptr 0
		.amdhsa_user_sgpr_queue_ptr 0
		.amdhsa_user_sgpr_kernarg_segment_ptr 1
		.amdhsa_user_sgpr_dispatch_id 0
		.amdhsa_user_sgpr_flat_scratch_init 0
		.amdhsa_user_sgpr_private_segment_size 0
		.amdhsa_uses_dynamic_stack 0
		.amdhsa_system_sgpr_private_segment_wavefront_offset 0
		.amdhsa_system_sgpr_workgroup_id_x 1
		.amdhsa_system_sgpr_workgroup_id_y 1
		.amdhsa_system_sgpr_workgroup_id_z 0
		.amdhsa_system_sgpr_workgroup_info 0
		.amdhsa_system_vgpr_workitem_id 1
		.amdhsa_next_free_vgpr 23
		.amdhsa_next_free_sgpr 25
		.amdhsa_reserve_vcc 1
		.amdhsa_reserve_flat_scratch 0
		.amdhsa_float_round_mode_32 0
		.amdhsa_float_round_mode_16_64 0
		.amdhsa_float_denorm_mode_32 3
		.amdhsa_float_denorm_mode_16_64 3
		.amdhsa_dx10_clamp 1
		.amdhsa_ieee_mode 1
		.amdhsa_fp16_overflow 0
		.amdhsa_exception_fp_ieee_invalid_op 0
		.amdhsa_exception_fp_denorm_src 0
		.amdhsa_exception_fp_ieee_div_zero 0
		.amdhsa_exception_fp_ieee_overflow 0
		.amdhsa_exception_fp_ieee_underflow 0
		.amdhsa_exception_fp_ieee_inexact 0
		.amdhsa_exception_int_div_zero 0
	.end_amdhsa_kernel
	.text
.Lfunc_end8:
	.size	_Z9DFT2D1gpuPfPN6thrust23THRUST_200600_302600_NS7complexIfEEii, .Lfunc_end8-_Z9DFT2D1gpuPfPN6thrust23THRUST_200600_302600_NS7complexIfEEii
                                        ; -- End function
	.set _Z9DFT2D1gpuPfPN6thrust23THRUST_200600_302600_NS7complexIfEEii.num_vgpr, 23
	.set _Z9DFT2D1gpuPfPN6thrust23THRUST_200600_302600_NS7complexIfEEii.num_agpr, 0
	.set _Z9DFT2D1gpuPfPN6thrust23THRUST_200600_302600_NS7complexIfEEii.numbered_sgpr, 25
	.set _Z9DFT2D1gpuPfPN6thrust23THRUST_200600_302600_NS7complexIfEEii.num_named_barrier, 0
	.set _Z9DFT2D1gpuPfPN6thrust23THRUST_200600_302600_NS7complexIfEEii.private_seg_size, 0
	.set _Z9DFT2D1gpuPfPN6thrust23THRUST_200600_302600_NS7complexIfEEii.uses_vcc, 1
	.set _Z9DFT2D1gpuPfPN6thrust23THRUST_200600_302600_NS7complexIfEEii.uses_flat_scratch, 0
	.set _Z9DFT2D1gpuPfPN6thrust23THRUST_200600_302600_NS7complexIfEEii.has_dyn_sized_stack, 0
	.set _Z9DFT2D1gpuPfPN6thrust23THRUST_200600_302600_NS7complexIfEEii.has_recursion, 0
	.set _Z9DFT2D1gpuPfPN6thrust23THRUST_200600_302600_NS7complexIfEEii.has_indirect_call, 0
	.section	.AMDGPU.csdata,"",@progbits
; Kernel info:
; codeLenInByte = 1184
; TotalNumSgprs: 29
; NumVgprs: 23
; ScratchSize: 0
; MemoryBound: 0
; FloatMode: 240
; IeeeMode: 1
; LDSByteSize: 0 bytes/workgroup (compile time only)
; SGPRBlocks: 3
; VGPRBlocks: 5
; NumSGPRsForWavesPerEU: 29
; NumVGPRsForWavesPerEU: 23
; Occupancy: 10
; WaveLimiterHint : 0
; COMPUTE_PGM_RSRC2:SCRATCH_EN: 0
; COMPUTE_PGM_RSRC2:USER_SGPR: 6
; COMPUTE_PGM_RSRC2:TRAP_HANDLER: 0
; COMPUTE_PGM_RSRC2:TGID_X_EN: 1
; COMPUTE_PGM_RSRC2:TGID_Y_EN: 1
; COMPUTE_PGM_RSRC2:TGID_Z_EN: 0
; COMPUTE_PGM_RSRC2:TIDIG_COMP_CNT: 1
	.text
	.protected	_Z9DFT2D2gpuPN6thrust23THRUST_200600_302600_NS7complexIfEES3_ii ; -- Begin function _Z9DFT2D2gpuPN6thrust23THRUST_200600_302600_NS7complexIfEES3_ii
	.globl	_Z9DFT2D2gpuPN6thrust23THRUST_200600_302600_NS7complexIfEES3_ii
	.p2align	8
	.type	_Z9DFT2D2gpuPN6thrust23THRUST_200600_302600_NS7complexIfEES3_ii,@function
_Z9DFT2D2gpuPN6thrust23THRUST_200600_302600_NS7complexIfEES3_ii: ; @_Z9DFT2D2gpuPN6thrust23THRUST_200600_302600_NS7complexIfEES3_ii
; %bb.0:
	s_load_dword s0, s[4:5], 0x24
	s_load_dwordx2 s[8:9], s[4:5], 0x10
	s_waitcnt lgkmcnt(0)
	s_lshr_b32 s1, s0, 16
	s_and_b32 s0, s0, 0xffff
	s_mul_i32 s7, s7, s1
	s_mul_i32 s6, s6, s0
	v_add_u32_e32 v1, s7, v1
	v_add_u32_e32 v0, s6, v0
	v_cmp_gt_i32_e32 vcc, s8, v1
	v_cmp_gt_i32_e64 s[0:1], s9, v0
	s_and_b64 s[0:1], vcc, s[0:1]
	s_and_saveexec_b64 s[2:3], s[0:1]
	s_cbranch_execz .LBB9_10
; %bb.1:
	s_load_dwordx4 s[4:7], s[4:5], 0x0
	s_cmp_lt_i32 s9, 1
	s_cbranch_scc1 .LBB9_8
; %bb.2:
	v_cvt_f32_i32_e32 v2, v0
	v_cvt_f32_i32_e32 v4, s9
	v_mov_b32_e32 v3, 0
	s_mov_b32 s12, 0
	s_brev_b32 s13, 18
	v_div_scale_f32 v5, s[0:1], v4, v4, v2
	v_div_scale_f32 v6, vcc, v2, v4, v2
	s_mov_b32 s14, 0xfe5163ab
	s_mov_b32 s15, 0x3c439041
	;; [unrolled: 1-line block ×10, first 2 shown]
	s_movk_i32 s24, 0x1f8
	v_mov_b32_e32 v10, 0x7fc00000
	v_rcp_f32_e32 v7, v5
	v_fma_f32 v8, -v5, v7, 1.0
	v_fmac_f32_e32 v7, v8, v7
	v_mul_f32_e32 v8, v6, v7
	v_fma_f32 v9, -v5, v8, v6
	v_fmac_f32_e32 v8, v9, v7
	v_fma_f32 v5, -v5, v8, v6
	v_div_fmas_f32 v11, v5, v7, v8
	v_mov_b32_e32 v6, 0x3d2aabf7
	v_mov_b32_e32 v7, 0xbf000004
	v_not_b32_e32 v8, 63
	v_not_b32_e32 v9, 31
	v_mov_b32_e32 v5, 0
	v_div_fixup_f32 v2, v11, v4, v2
	v_mul_f32_e32 v11, 0xc0c90fdb, v2
	v_mov_b32_e32 v4, 0
	s_branch .LBB9_4
.LBB9_3:                                ;   in Loop: Header=BB9_4 Depth=1
	s_or_b64 exec, exec, s[0:1]
	v_mul_lo_u32 v15, v1, s9
	s_waitcnt lgkmcnt(0)
	v_mov_b32_e32 v17, s5
	v_mov_b32_e32 v18, 0x3c0881c4
	;; [unrolled: 1-line block ×3, first 2 shown]
	v_add_u32_e32 v15, s12, v15
	v_ashrrev_i32_e32 v16, 31, v15
	v_lshlrev_b64 v[15:16], 3, v[15:16]
	v_mov_b32_e32 v21, 0xbe2aaa9d
	v_add_co_u32_e32 v15, vcc, s4, v15
	v_addc_co_u32_e32 v16, vcc, v17, v16, vcc
	global_load_dwordx2 v[15:16], v[15:16], off
	v_mul_f32_e32 v17, v2, v2
	v_fmac_f32_e32 v18, 0xb94c1982, v17
	v_fmac_f32_e32 v19, 0x37d75334, v17
	v_fma_f32 v18, v17, v18, v21
	v_fma_f32 v19, v17, v19, v6
	v_lshlrev_b32_e32 v20, 30, v14
	v_and_b32_e32 v14, 1, v14
	v_mul_f32_e32 v18, v17, v18
	v_fma_f32 v19, v17, v19, v7
	v_fmac_f32_e32 v2, v2, v18
	v_fma_f32 v17, v17, v19, 1.0
	v_cmp_eq_u32_e32 vcc, 0, v14
	v_xor_b32_e32 v13, v13, v12
	v_cndmask_b32_e32 v14, v17, v2, vcc
	v_and_b32_e32 v20, 0x80000000, v20
	v_xor_b32_e32 v2, 0x80000000, v2
	v_xor_b32_e32 v13, v13, v14
	v_cndmask_b32_e32 v2, v2, v17, vcc
	v_xor_b32_e32 v13, v13, v20
	v_cmp_class_f32_e64 vcc, v12, s24
	v_xor_b32_e32 v2, v2, v20
	v_cndmask_b32_e32 v12, v10, v13, vcc
	v_cndmask_b32_e32 v2, v10, v2, vcc
	s_add_i32 s12, s12, 1
	s_cmp_eq_u32 s9, s12
	s_waitcnt vmcnt(0)
	v_mul_f32_e32 v13, v16, v12
	v_mul_f32_e32 v12, v15, v12
	v_fma_f32 v13, v15, v2, -v13
	v_fmac_f32_e32 v12, v16, v2
	v_add_f32_e32 v4, v4, v13
	v_add_f32_e32 v5, v5, v12
	s_cbranch_scc1 .LBB9_9
.LBB9_4:                                ; =>This Inner Loop Header: Depth=1
	v_cvt_f32_u32_e32 v2, s12
                                        ; implicit-def: $vgpr14
	v_mul_f32_e32 v12, v11, v2
	v_and_b32_e32 v13, 0x7fffffff, v12
	v_cmp_nlt_f32_e64 s[0:1], |v12|, s13
                                        ; implicit-def: $vgpr2
	s_and_saveexec_b64 s[2:3], s[0:1]
	s_xor_b64 s[10:11], exec, s[2:3]
	s_cbranch_execz .LBB9_6
; %bb.5:                                ;   in Loop: Header=BB9_4 Depth=1
	v_and_b32_e32 v2, 0x7fffff, v13
	v_or_b32_e32 v21, 0x800000, v2
	v_mad_u64_u32 v[14:15], s[0:1], v21, s14, 0
	v_mov_b32_e32 v2, v15
	v_mad_u64_u32 v[15:16], s[0:1], v21, s15, v[2:3]
	v_mov_b32_e32 v2, v16
	;; [unrolled: 2-line block ×3, first 2 shown]
	v_mad_u64_u32 v[17:18], s[0:1], v21, s17, v[2:3]
	v_lshrrev_b32_e32 v2, 23, v13
	v_add_u32_e32 v20, 0xffffff88, v2
	v_mov_b32_e32 v2, v18
	v_mad_u64_u32 v[18:19], s[0:1], v21, s18, v[2:3]
	v_cmp_lt_u32_e32 vcc, 63, v20
	v_cndmask_b32_e32 v2, 0, v8, vcc
	v_add_u32_e32 v22, v2, v20
	v_mov_b32_e32 v2, v19
	v_mad_u64_u32 v[19:20], s[0:1], v21, s19, v[2:3]
	v_cmp_lt_u32_e64 s[0:1], 31, v22
	v_cndmask_b32_e64 v2, 0, v9, s[0:1]
	v_add_u32_e32 v22, v2, v22
	v_mov_b32_e32 v2, v20
	v_mad_u64_u32 v[20:21], s[2:3], v21, s20, v[2:3]
	v_cndmask_b32_e32 v14, v16, v14, vcc
	v_cndmask_b32_e32 v2, v17, v15, vcc
	;; [unrolled: 1-line block ×6, first 2 shown]
	v_cmp_lt_u32_e32 vcc, 31, v22
	v_cndmask_b32_e32 v19, 0, v9, vcc
	v_add_u32_e32 v19, v19, v22
	v_cndmask_b32_e64 v20, v18, v16, s[0:1]
	v_cndmask_b32_e64 v17, v17, v18, s[0:1]
	;; [unrolled: 1-line block ×3, first 2 shown]
	v_cndmask_b32_e32 v17, v17, v20, vcc
	v_cndmask_b32_e32 v18, v20, v16, vcc
	v_sub_u32_e32 v20, 32, v19
	v_cndmask_b32_e64 v15, v15, v2, s[0:1]
	v_alignbit_b32 v21, v17, v18, v20
	v_cmp_eq_u32_e64 s[2:3], 0, v19
	v_cndmask_b32_e32 v16, v16, v15, vcc
	v_cndmask_b32_e64 v17, v21, v17, s[2:3]
	v_alignbit_b32 v19, v18, v16, v20
	v_cndmask_b32_e64 v18, v19, v18, s[2:3]
	v_cndmask_b32_e64 v2, v2, v14, s[0:1]
	v_bfe_u32 v14, v17, 29, 1
	v_alignbit_b32 v19, v17, v18, 30
	v_cndmask_b32_e32 v2, v15, v2, vcc
	v_sub_u32_e32 v15, 0, v14
	v_xor_b32_e32 v19, v19, v15
	v_alignbit_b32 v20, v16, v2, v20
	v_cndmask_b32_e64 v16, v20, v16, s[2:3]
	v_ffbh_u32_e32 v20, v19
	v_alignbit_b32 v18, v18, v16, 30
	v_min_u32_e32 v20, 32, v20
	v_alignbit_b32 v2, v16, v2, 30
	v_xor_b32_e32 v18, v18, v15
	v_sub_u32_e32 v16, 31, v20
	v_xor_b32_e32 v2, v2, v15
	v_alignbit_b32 v19, v19, v18, v16
	v_alignbit_b32 v2, v18, v2, v16
	;; [unrolled: 1-line block ×3, first 2 shown]
	v_ffbh_u32_e32 v16, v15
	v_min_u32_e32 v16, 32, v16
	v_not_b32_e32 v18, v16
	v_alignbit_b32 v2, v15, v2, v18
	v_lshrrev_b32_e32 v15, 29, v17
	v_lshlrev_b32_e32 v15, 31, v15
	v_or_b32_e32 v18, 0x33000000, v15
	v_add_lshl_u32 v16, v16, v20, 23
	v_lshrrev_b32_e32 v2, 9, v2
	v_sub_u32_e32 v16, v18, v16
	v_or_b32_e32 v15, 0.5, v15
	v_lshlrev_b32_e32 v18, 23, v20
	v_or_b32_e32 v2, v16, v2
	v_lshrrev_b32_e32 v16, 9, v19
	v_sub_u32_e32 v15, v15, v18
	v_or_b32_e32 v15, v16, v15
	v_mul_f32_e32 v16, 0x3fc90fda, v15
	v_fma_f32 v18, v15, s21, -v16
	v_fmac_f32_e32 v18, 0x33a22168, v15
	v_fmac_f32_e32 v18, 0x3fc90fda, v2
	v_lshrrev_b32_e32 v15, 30, v17
	v_add_f32_e32 v2, v16, v18
	v_add_u32_e32 v14, v14, v15
.LBB9_6:                                ;   in Loop: Header=BB9_4 Depth=1
	s_andn2_saveexec_b64 s[0:1], s[10:11]
	s_cbranch_execz .LBB9_3
; %bb.7:                                ;   in Loop: Header=BB9_4 Depth=1
	v_mul_f32_e64 v2, |v12|, s22
	v_rndne_f32_e32 v15, v2
	v_cvt_i32_f32_e32 v14, v15
	v_fma_f32 v2, v15, s23, |v12|
	v_fmac_f32_e32 v2, 0xb3a22168, v15
	v_fmac_f32_e32 v2, 0xa7c234c4, v15
	s_branch .LBB9_3
.LBB9_8:
	v_mov_b32_e32 v5, 0
	v_mov_b32_e32 v4, 0
.LBB9_9:
	v_mad_u64_u32 v[0:1], s[0:1], v0, s8, v[1:2]
	s_waitcnt lgkmcnt(0)
	v_mov_b32_e32 v2, s7
	v_ashrrev_i32_e32 v1, 31, v0
	v_lshlrev_b64 v[0:1], 3, v[0:1]
	v_add_co_u32_e32 v0, vcc, s6, v0
	v_addc_co_u32_e32 v1, vcc, v2, v1, vcc
	global_store_dwordx2 v[0:1], v[4:5], off
.LBB9_10:
	s_endpgm
	.section	.rodata,"a",@progbits
	.p2align	6, 0x0
	.amdhsa_kernel _Z9DFT2D2gpuPN6thrust23THRUST_200600_302600_NS7complexIfEES3_ii
		.amdhsa_group_segment_fixed_size 0
		.amdhsa_private_segment_fixed_size 0
		.amdhsa_kernarg_size 280
		.amdhsa_user_sgpr_count 6
		.amdhsa_user_sgpr_private_segment_buffer 1
		.amdhsa_user_sgpr_dispatch_ptr 0
		.amdhsa_user_sgpr_queue_ptr 0
		.amdhsa_user_sgpr_kernarg_segment_ptr 1
		.amdhsa_user_sgpr_dispatch_id 0
		.amdhsa_user_sgpr_flat_scratch_init 0
		.amdhsa_user_sgpr_private_segment_size 0
		.amdhsa_uses_dynamic_stack 0
		.amdhsa_system_sgpr_private_segment_wavefront_offset 0
		.amdhsa_system_sgpr_workgroup_id_x 1
		.amdhsa_system_sgpr_workgroup_id_y 1
		.amdhsa_system_sgpr_workgroup_id_z 0
		.amdhsa_system_sgpr_workgroup_info 0
		.amdhsa_system_vgpr_workitem_id 1
		.amdhsa_next_free_vgpr 23
		.amdhsa_next_free_sgpr 25
		.amdhsa_reserve_vcc 1
		.amdhsa_reserve_flat_scratch 0
		.amdhsa_float_round_mode_32 0
		.amdhsa_float_round_mode_16_64 0
		.amdhsa_float_denorm_mode_32 3
		.amdhsa_float_denorm_mode_16_64 3
		.amdhsa_dx10_clamp 1
		.amdhsa_ieee_mode 1
		.amdhsa_fp16_overflow 0
		.amdhsa_exception_fp_ieee_invalid_op 0
		.amdhsa_exception_fp_denorm_src 0
		.amdhsa_exception_fp_ieee_div_zero 0
		.amdhsa_exception_fp_ieee_overflow 0
		.amdhsa_exception_fp_ieee_underflow 0
		.amdhsa_exception_fp_ieee_inexact 0
		.amdhsa_exception_int_div_zero 0
	.end_amdhsa_kernel
	.text
.Lfunc_end9:
	.size	_Z9DFT2D2gpuPN6thrust23THRUST_200600_302600_NS7complexIfEES3_ii, .Lfunc_end9-_Z9DFT2D2gpuPN6thrust23THRUST_200600_302600_NS7complexIfEES3_ii
                                        ; -- End function
	.set _Z9DFT2D2gpuPN6thrust23THRUST_200600_302600_NS7complexIfEES3_ii.num_vgpr, 23
	.set _Z9DFT2D2gpuPN6thrust23THRUST_200600_302600_NS7complexIfEES3_ii.num_agpr, 0
	.set _Z9DFT2D2gpuPN6thrust23THRUST_200600_302600_NS7complexIfEES3_ii.numbered_sgpr, 25
	.set _Z9DFT2D2gpuPN6thrust23THRUST_200600_302600_NS7complexIfEES3_ii.num_named_barrier, 0
	.set _Z9DFT2D2gpuPN6thrust23THRUST_200600_302600_NS7complexIfEES3_ii.private_seg_size, 0
	.set _Z9DFT2D2gpuPN6thrust23THRUST_200600_302600_NS7complexIfEES3_ii.uses_vcc, 1
	.set _Z9DFT2D2gpuPN6thrust23THRUST_200600_302600_NS7complexIfEES3_ii.uses_flat_scratch, 0
	.set _Z9DFT2D2gpuPN6thrust23THRUST_200600_302600_NS7complexIfEES3_ii.has_dyn_sized_stack, 0
	.set _Z9DFT2D2gpuPN6thrust23THRUST_200600_302600_NS7complexIfEES3_ii.has_recursion, 0
	.set _Z9DFT2D2gpuPN6thrust23THRUST_200600_302600_NS7complexIfEES3_ii.has_indirect_call, 0
	.section	.AMDGPU.csdata,"",@progbits
; Kernel info:
; codeLenInByte = 1204
; TotalNumSgprs: 29
; NumVgprs: 23
; ScratchSize: 0
; MemoryBound: 0
; FloatMode: 240
; IeeeMode: 1
; LDSByteSize: 0 bytes/workgroup (compile time only)
; SGPRBlocks: 3
; VGPRBlocks: 5
; NumSGPRsForWavesPerEU: 29
; NumVGPRsForWavesPerEU: 23
; Occupancy: 10
; WaveLimiterHint : 0
; COMPUTE_PGM_RSRC2:SCRATCH_EN: 0
; COMPUTE_PGM_RSRC2:USER_SGPR: 6
; COMPUTE_PGM_RSRC2:TRAP_HANDLER: 0
; COMPUTE_PGM_RSRC2:TGID_X_EN: 1
; COMPUTE_PGM_RSRC2:TGID_Y_EN: 1
; COMPUTE_PGM_RSRC2:TGID_Z_EN: 0
; COMPUTE_PGM_RSRC2:TIDIG_COMP_CNT: 1
	.text
	.protected	_Z10iDFT2D1gpuPN6thrust23THRUST_200600_302600_NS7complexIfEES3_ii ; -- Begin function _Z10iDFT2D1gpuPN6thrust23THRUST_200600_302600_NS7complexIfEES3_ii
	.globl	_Z10iDFT2D1gpuPN6thrust23THRUST_200600_302600_NS7complexIfEES3_ii
	.p2align	8
	.type	_Z10iDFT2D1gpuPN6thrust23THRUST_200600_302600_NS7complexIfEES3_ii,@function
_Z10iDFT2D1gpuPN6thrust23THRUST_200600_302600_NS7complexIfEES3_ii: ; @_Z10iDFT2D1gpuPN6thrust23THRUST_200600_302600_NS7complexIfEES3_ii
; %bb.0:
	s_load_dword s0, s[4:5], 0x24
	s_load_dwordx2 s[12:13], s[4:5], 0x10
	s_waitcnt lgkmcnt(0)
	s_lshr_b32 s1, s0, 16
	s_and_b32 s0, s0, 0xffff
	s_mul_i32 s7, s7, s1
	s_mul_i32 s6, s6, s0
	v_add_u32_e32 v1, s7, v1
	v_add_u32_e32 v0, s6, v0
	v_cmp_gt_i32_e32 vcc, s12, v1
	v_cmp_gt_i32_e64 s[0:1], s13, v0
	s_and_b64 s[0:1], vcc, s[0:1]
	s_and_saveexec_b64 s[2:3], s[0:1]
	s_cbranch_execz .LBB10_16
; %bb.1:
	v_cvt_f32_i32_e32 v2, v0
	v_cvt_f32_i32_e32 v4, s13
	s_load_dwordx4 s[8:11], s[4:5], 0x0
	v_div_scale_f32 v3, s[0:1], v4, v4, v2
	v_div_scale_f32 v5, vcc, v2, v4, v2
	s_lshr_b32 s0, s13, 31
	s_add_i32 s0, s13, s0
	s_ashr_i32 s6, s0, 1
	s_add_i32 s14, s6, 1
	s_cmp_lt_i32 s13, -1
	v_rcp_f32_e32 v6, v3
	v_fma_f32 v7, -v3, v6, 1.0
	v_fmac_f32_e32 v6, v7, v6
	v_mul_f32_e32 v7, v5, v6
	v_fma_f32 v8, -v3, v7, v5
	v_fmac_f32_e32 v7, v8, v6
	v_fma_f32 v3, -v3, v7, v5
	v_div_fmas_f32 v5, v3, v6, v7
	v_mov_b32_e32 v3, 0
	v_div_fixup_f32 v2, v5, v4, v2
	v_mul_f32_e32 v6, 0x40c90fdb, v2
	v_mov_b32_e32 v2, 0
	s_cbranch_scc1 .LBB10_8
; %bb.2:
	v_mov_b32_e32 v5, 0
	s_mov_b32 s7, 0
	s_brev_b32 s15, 18
	s_mov_b32 s16, 0xfe5163ab
	s_mov_b32 s17, 0x3c439041
	;; [unrolled: 1-line block ×10, first 2 shown]
	v_mov_b32_e32 v7, 0x3d2aabf7
	v_mov_b32_e32 v8, 0xbf000004
	s_movk_i32 s26, 0x1f8
	v_not_b32_e32 v9, 63
	v_not_b32_e32 v10, 31
	v_mov_b32_e32 v11, 0x7fc00000
	v_mov_b32_e32 v3, 0
	;; [unrolled: 1-line block ×3, first 2 shown]
	s_branch .LBB10_4
.LBB10_3:                               ;   in Loop: Header=BB10_4 Depth=1
	s_or_b64 exec, exec, s[0:1]
	v_mul_lo_u32 v15, v1, s14
	s_waitcnt lgkmcnt(0)
	v_mov_b32_e32 v17, s9
	v_mov_b32_e32 v18, 0x3c0881c4
	;; [unrolled: 1-line block ×3, first 2 shown]
	v_add_u32_e32 v15, s7, v15
	v_ashrrev_i32_e32 v16, 31, v15
	v_lshlrev_b64 v[15:16], 3, v[15:16]
	v_mov_b32_e32 v21, 0xbe2aaa9d
	v_add_co_u32_e32 v15, vcc, s8, v15
	v_addc_co_u32_e32 v16, vcc, v17, v16, vcc
	global_load_dwordx2 v[15:16], v[15:16], off
	v_mul_f32_e32 v17, v4, v4
	v_fmac_f32_e32 v18, 0xb94c1982, v17
	v_fmac_f32_e32 v19, 0x37d75334, v17
	v_fma_f32 v18, v17, v18, v21
	v_fma_f32 v19, v17, v19, v7
	v_lshlrev_b32_e32 v20, 30, v14
	v_and_b32_e32 v14, 1, v14
	v_mul_f32_e32 v18, v17, v18
	v_fma_f32 v19, v17, v19, v8
	v_fmac_f32_e32 v4, v4, v18
	v_fma_f32 v17, v17, v19, 1.0
	v_cmp_eq_u32_e32 vcc, 0, v14
	v_xor_b32_e32 v13, v13, v12
	v_cndmask_b32_e32 v14, v17, v4, vcc
	v_and_b32_e32 v20, 0x80000000, v20
	v_xor_b32_e32 v4, 0x80000000, v4
	v_xor_b32_e32 v13, v13, v14
	v_cndmask_b32_e32 v4, v4, v17, vcc
	v_xor_b32_e32 v13, v13, v20
	v_cmp_class_f32_e64 vcc, v12, s26
	v_xor_b32_e32 v4, v4, v20
	v_cndmask_b32_e32 v12, v11, v13, vcc
	v_cndmask_b32_e32 v4, v11, v4, vcc
	s_add_i32 s7, s7, 1
	s_cmp_eq_u32 s14, s7
	s_waitcnt vmcnt(0)
	v_mul_f32_e32 v13, v16, v12
	v_mul_f32_e32 v12, v15, v12
	v_fma_f32 v13, v15, v4, -v13
	v_fmac_f32_e32 v12, v16, v4
	v_add_f32_e32 v2, v2, v13
	v_add_f32_e32 v3, v3, v12
	s_cbranch_scc1 .LBB10_8
.LBB10_4:                               ; =>This Inner Loop Header: Depth=1
	v_cvt_f32_u32_e32 v4, s7
                                        ; implicit-def: $vgpr14
	v_mul_f32_e32 v12, v6, v4
	v_and_b32_e32 v13, 0x7fffffff, v12
	v_cmp_nlt_f32_e64 s[0:1], |v12|, s15
                                        ; implicit-def: $vgpr4
	s_and_saveexec_b64 s[2:3], s[0:1]
	s_xor_b64 s[4:5], exec, s[2:3]
	s_cbranch_execz .LBB10_6
; %bb.5:                                ;   in Loop: Header=BB10_4 Depth=1
	v_and_b32_e32 v4, 0x7fffff, v13
	v_or_b32_e32 v21, 0x800000, v4
	v_mad_u64_u32 v[14:15], s[0:1], v21, s16, 0
	v_mov_b32_e32 v4, v15
	v_mad_u64_u32 v[15:16], s[0:1], v21, s17, v[4:5]
	v_mov_b32_e32 v4, v16
	;; [unrolled: 2-line block ×3, first 2 shown]
	v_mad_u64_u32 v[17:18], s[0:1], v21, s19, v[4:5]
	v_lshrrev_b32_e32 v4, 23, v13
	v_add_u32_e32 v20, 0xffffff88, v4
	v_mov_b32_e32 v4, v18
	v_mad_u64_u32 v[18:19], s[0:1], v21, s20, v[4:5]
	v_cmp_lt_u32_e32 vcc, 63, v20
	v_cndmask_b32_e32 v4, 0, v9, vcc
	v_add_u32_e32 v22, v4, v20
	v_mov_b32_e32 v4, v19
	v_mad_u64_u32 v[19:20], s[0:1], v21, s21, v[4:5]
	v_cmp_lt_u32_e64 s[0:1], 31, v22
	v_cndmask_b32_e64 v4, 0, v10, s[0:1]
	v_add_u32_e32 v22, v4, v22
	v_mov_b32_e32 v4, v20
	v_mad_u64_u32 v[20:21], s[2:3], v21, s22, v[4:5]
	v_cndmask_b32_e32 v14, v16, v14, vcc
	v_cndmask_b32_e32 v4, v17, v15, vcc
	;; [unrolled: 1-line block ×6, first 2 shown]
	v_cmp_lt_u32_e32 vcc, 31, v22
	v_cndmask_b32_e32 v19, 0, v10, vcc
	v_add_u32_e32 v19, v19, v22
	v_cndmask_b32_e64 v20, v18, v16, s[0:1]
	v_cndmask_b32_e64 v17, v17, v18, s[0:1]
	;; [unrolled: 1-line block ×3, first 2 shown]
	v_cndmask_b32_e32 v17, v17, v20, vcc
	v_cndmask_b32_e32 v18, v20, v16, vcc
	v_sub_u32_e32 v20, 32, v19
	v_cndmask_b32_e64 v15, v15, v4, s[0:1]
	v_alignbit_b32 v21, v17, v18, v20
	v_cmp_eq_u32_e64 s[2:3], 0, v19
	v_cndmask_b32_e32 v16, v16, v15, vcc
	v_cndmask_b32_e64 v17, v21, v17, s[2:3]
	v_alignbit_b32 v19, v18, v16, v20
	v_cndmask_b32_e64 v18, v19, v18, s[2:3]
	v_cndmask_b32_e64 v4, v4, v14, s[0:1]
	v_bfe_u32 v14, v17, 29, 1
	v_alignbit_b32 v19, v17, v18, 30
	v_cndmask_b32_e32 v4, v15, v4, vcc
	v_sub_u32_e32 v15, 0, v14
	v_xor_b32_e32 v19, v19, v15
	v_alignbit_b32 v20, v16, v4, v20
	v_cndmask_b32_e64 v16, v20, v16, s[2:3]
	v_ffbh_u32_e32 v20, v19
	v_alignbit_b32 v18, v18, v16, 30
	v_min_u32_e32 v20, 32, v20
	v_alignbit_b32 v4, v16, v4, 30
	v_xor_b32_e32 v18, v18, v15
	v_sub_u32_e32 v16, 31, v20
	v_xor_b32_e32 v4, v4, v15
	v_alignbit_b32 v19, v19, v18, v16
	v_alignbit_b32 v4, v18, v4, v16
	;; [unrolled: 1-line block ×3, first 2 shown]
	v_ffbh_u32_e32 v16, v15
	v_min_u32_e32 v16, 32, v16
	v_not_b32_e32 v18, v16
	v_alignbit_b32 v4, v15, v4, v18
	v_lshrrev_b32_e32 v15, 29, v17
	v_lshlrev_b32_e32 v15, 31, v15
	v_or_b32_e32 v18, 0x33000000, v15
	v_add_lshl_u32 v16, v16, v20, 23
	v_lshrrev_b32_e32 v4, 9, v4
	v_sub_u32_e32 v16, v18, v16
	v_or_b32_e32 v15, 0.5, v15
	v_lshlrev_b32_e32 v18, 23, v20
	v_or_b32_e32 v4, v16, v4
	v_lshrrev_b32_e32 v16, 9, v19
	v_sub_u32_e32 v15, v15, v18
	v_or_b32_e32 v15, v16, v15
	v_mul_f32_e32 v16, 0x3fc90fda, v15
	v_fma_f32 v18, v15, s23, -v16
	v_fmac_f32_e32 v18, 0x33a22168, v15
	v_fmac_f32_e32 v18, 0x3fc90fda, v4
	v_lshrrev_b32_e32 v15, 30, v17
	v_add_f32_e32 v4, v16, v18
	v_add_u32_e32 v14, v14, v15
.LBB10_6:                               ;   in Loop: Header=BB10_4 Depth=1
	s_andn2_saveexec_b64 s[0:1], s[4:5]
	s_cbranch_execz .LBB10_3
; %bb.7:                                ;   in Loop: Header=BB10_4 Depth=1
	v_mul_f32_e64 v4, |v12|, s24
	v_rndne_f32_e32 v15, v4
	v_cvt_i32_f32_e32 v14, v15
	v_fma_f32 v4, v15, s25, |v12|
	v_fmac_f32_e32 v4, 0xb3a22168, v15
	v_fmac_f32_e32 v4, 0xa7c234c4, v15
	s_branch .LBB10_3
.LBB10_8:
	s_cmp_ge_i32 s14, s13
	s_cbranch_scc1 .LBB10_15
; %bb.9:
	s_abs_i32 s0, s12
	v_cvt_f32_u32_e32 v4, s0
	s_sub_i32 s2, 0, s0
	v_sub_u32_e32 v5, s12, v1
	v_sub_u32_e32 v10, 0, v5
	v_rcp_iflag_f32_e32 v4, v4
	v_ashrrev_i32_e32 v9, 31, v5
	v_max_i32_e32 v5, v5, v10
	s_abs_i32 s15, s13
	v_mul_f32_e32 v4, 0x4f7ffffe, v4
	v_cvt_u32_f32_e32 v4, v4
	v_cvt_f32_u32_e32 v7, s15
	s_not_b32 s1, s6
	s_add_i32 s18, s1, s13
	v_mul_lo_u32 v8, s2, v4
	v_rcp_iflag_f32_e32 v7, v7
	s_sub_i32 s2, 0, s15
	s_brev_b32 s16, 18
	v_mul_hi_u32 v8, v4, v8
	v_mul_f32_e32 v7, 0x4f7ffffe, v7
	v_cvt_u32_f32_e32 v7, v7
	s_mov_b32 s17, 0xfe5163ab
	v_add_u32_e32 v4, v4, v8
	v_mul_hi_u32 v4, v5, v4
	v_readfirstlane_b32 s1, v7
	s_mul_i32 s2, s2, s1
	s_mul_hi_u32 s2, s1, s2
	v_mul_lo_u32 v4, v4, s0
	s_add_i32 s19, s1, s2
	s_mov_b32 s20, 0x3c439041
	s_mov_b32 s21, 0xdb629599
	v_sub_u32_e32 v4, v5, v4
	v_subrev_u32_e32 v5, s0, v4
	v_cmp_le_u32_e32 vcc, s0, v4
	v_cndmask_b32_e32 v4, v4, v5, vcc
	v_subrev_u32_e32 v5, s0, v4
	v_cmp_le_u32_e32 vcc, s0, v4
	v_cndmask_b32_e32 v4, v4, v5, vcc
	v_xor_b32_e32 v4, v4, v9
	v_sub_u32_e32 v4, v4, v9
	v_mul_lo_u32 v7, v4, s14
	v_mov_b32_e32 v5, 0
	s_mov_b32 s22, 0xf534ddc0
	s_mov_b32 s23, 0xfc2757d1
	;; [unrolled: 1-line block ×7, first 2 shown]
	s_movk_i32 s29, 0x1f8
	v_not_b32_e32 v8, 31
	v_mov_b32_e32 v9, 0x7fc00000
	s_branch .LBB10_11
.LBB10_10:                              ;   in Loop: Header=BB10_11 Depth=1
	s_or_b64 exec, exec, s[0:1]
	s_abs_i32 s1, s18
	s_mul_hi_u32 s2, s1, s19
	s_mul_i32 s2, s2, s15
	s_sub_i32 s1, s1, s2
	s_ashr_i32 s0, s18, 31
	s_sub_i32 s2, s1, s15
	s_cmp_ge_u32 s1, s15
	s_cselect_b32 s1, s2, s1
	s_sub_i32 s2, s1, s15
	s_cmp_ge_u32 s1, s15
	s_cselect_b32 s1, s2, s1
	s_xor_b32 s1, s1, s0
	s_sub_i32 s0, s1, s0
	v_add_u32_e32 v13, s0, v7
	v_ashrrev_i32_e32 v14, 31, v13
	v_lshlrev_b64 v[13:14], 3, v[13:14]
	s_waitcnt lgkmcnt(0)
	v_mov_b32_e32 v15, s9
	v_add_co_u32_e32 v13, vcc, s8, v13
	v_addc_co_u32_e32 v14, vcc, v15, v14, vcc
	global_load_dwordx2 v[13:14], v[13:14], off
	v_mul_f32_e32 v15, v4, v4
	v_mov_b32_e32 v16, 0x3c0881c4
	v_mov_b32_e32 v17, 0xbab64f3b
	;; [unrolled: 1-line block ×4, first 2 shown]
	v_fmac_f32_e32 v16, 0xb94c1982, v15
	v_fmac_f32_e32 v17, 0x37d75334, v15
	v_mov_b32_e32 v21, 0xbf000004
	v_fma_f32 v16, v15, v16, v19
	v_fma_f32 v17, v15, v17, v20
	v_lshlrev_b32_e32 v18, 30, v12
	v_and_b32_e32 v12, 1, v12
	v_mul_f32_e32 v16, v15, v16
	v_fma_f32 v17, v15, v17, v21
	v_fmac_f32_e32 v4, v4, v16
	v_fma_f32 v15, v15, v17, 1.0
	v_cmp_eq_u32_e32 vcc, 0, v12
	v_xor_b32_e32 v11, v11, v10
	v_cndmask_b32_e32 v12, v15, v4, vcc
	v_xor_b32_e32 v4, 0x80000000, v4
	v_and_b32_e32 v18, 0x80000000, v18
	v_xor_b32_e32 v11, v11, v12
	v_cndmask_b32_e32 v4, v4, v15, vcc
	v_xor_b32_e32 v11, v11, v18
	v_xor_b32_e32 v4, v4, v18
	v_cmp_class_f32_e64 vcc, v10, s29
	v_cndmask_b32_e32 v4, v9, v4, vcc
	v_cndmask_b32_e32 v10, v9, v11, vcc
	s_add_i32 s14, s14, 1
	s_add_i32 s18, s18, -1
	s_cmp_ge_i32 s14, s13
	s_waitcnt vmcnt(0)
	v_mul_f32_e32 v11, v14, v10
	v_mul_f32_e32 v12, v14, v4
	v_fmac_f32_e32 v11, v13, v4
	v_fma_f32 v4, v13, v10, -v12
	v_add_f32_e32 v2, v2, v11
	v_add_f32_e32 v3, v3, v4
	s_cbranch_scc1 .LBB10_15
.LBB10_11:                              ; =>This Inner Loop Header: Depth=1
	v_cvt_f32_i32_e32 v4, s14
                                        ; implicit-def: $vgpr12
	v_mul_f32_e32 v10, v6, v4
	v_and_b32_e32 v11, 0x7fffffff, v10
	v_cmp_nlt_f32_e64 s[0:1], |v10|, s16
                                        ; implicit-def: $vgpr4
	s_and_saveexec_b64 s[2:3], s[0:1]
	s_xor_b64 s[6:7], exec, s[2:3]
	s_cbranch_execz .LBB10_13
; %bb.12:                               ;   in Loop: Header=BB10_11 Depth=1
	v_and_b32_e32 v4, 0x7fffff, v11
	v_or_b32_e32 v19, 0x800000, v4
	v_mad_u64_u32 v[12:13], s[0:1], v19, s17, 0
	v_not_b32_e32 v18, 63
	v_mov_b32_e32 v4, v13
	v_mad_u64_u32 v[13:14], s[0:1], v19, s20, v[4:5]
	v_mov_b32_e32 v4, v14
	v_mad_u64_u32 v[14:15], s[0:1], v19, s21, v[4:5]
	;; [unrolled: 2-line block ×3, first 2 shown]
	v_lshrrev_b32_e32 v4, 23, v11
	v_add_u32_e32 v20, 0xffffff88, v4
	v_mov_b32_e32 v4, v16
	v_mad_u64_u32 v[16:17], s[0:1], v19, s23, v[4:5]
	v_cmp_lt_u32_e32 vcc, 63, v20
	v_cndmask_b32_e32 v4, 0, v18, vcc
	v_add_u32_e32 v20, v4, v20
	v_mov_b32_e32 v4, v17
	v_mad_u64_u32 v[17:18], s[0:1], v19, s24, v[4:5]
	v_cmp_lt_u32_e64 s[0:1], 31, v20
	v_cndmask_b32_e64 v4, 0, v8, s[0:1]
	v_add_u32_e32 v20, v4, v20
	v_mov_b32_e32 v4, v18
	v_mad_u64_u32 v[18:19], s[2:3], v19, s25, v[4:5]
	v_cmp_lt_u32_e64 s[2:3], 31, v20
	v_cndmask_b32_e64 v4, 0, v8, s[2:3]
	v_add_u32_e32 v4, v4, v20
	v_cndmask_b32_e32 v20, v17, v15, vcc
	v_cndmask_b32_e32 v17, v19, v17, vcc
	;; [unrolled: 1-line block ×4, first 2 shown]
	v_cndmask_b32_e64 v19, v18, v20, s[0:1]
	v_cndmask_b32_e64 v17, v17, v18, s[0:1]
	;; [unrolled: 1-line block ×3, first 2 shown]
	v_sub_u32_e32 v20, 32, v4
	v_cmp_eq_u32_e64 s[4:5], 0, v4
	v_cndmask_b32_e32 v4, v15, v13, vcc
	v_cndmask_b32_e64 v17, v17, v19, s[2:3]
	v_cndmask_b32_e64 v19, v19, v18, s[2:3]
	;; [unrolled: 1-line block ×3, first 2 shown]
	v_alignbit_b32 v21, v17, v19, v20
	v_cndmask_b32_e64 v15, v18, v13, s[2:3]
	v_cndmask_b32_e64 v17, v21, v17, s[4:5]
	v_alignbit_b32 v16, v19, v15, v20
	v_cndmask_b32_e32 v12, v14, v12, vcc
	v_cndmask_b32_e64 v16, v16, v19, s[4:5]
	v_bfe_u32 v21, v17, 29, 1
	v_cndmask_b32_e64 v4, v4, v12, s[0:1]
	v_alignbit_b32 v18, v17, v16, 30
	v_sub_u32_e32 v22, 0, v21
	v_cndmask_b32_e64 v4, v13, v4, s[2:3]
	v_xor_b32_e32 v18, v18, v22
	v_alignbit_b32 v12, v15, v4, v20
	v_cndmask_b32_e64 v12, v12, v15, s[4:5]
	v_ffbh_u32_e32 v14, v18
	v_alignbit_b32 v13, v16, v12, 30
	v_min_u32_e32 v14, 32, v14
	v_alignbit_b32 v4, v12, v4, 30
	v_xor_b32_e32 v13, v13, v22
	v_sub_u32_e32 v15, 31, v14
	v_xor_b32_e32 v4, v4, v22
	v_alignbit_b32 v16, v18, v13, v15
	v_alignbit_b32 v4, v13, v4, v15
	;; [unrolled: 1-line block ×3, first 2 shown]
	v_ffbh_u32_e32 v13, v12
	v_min_u32_e32 v13, 32, v13
	v_lshrrev_b32_e32 v19, 29, v17
	v_not_b32_e32 v15, v13
	v_alignbit_b32 v4, v12, v4, v15
	v_lshlrev_b32_e32 v12, 31, v19
	v_or_b32_e32 v15, 0x33000000, v12
	v_add_lshl_u32 v13, v13, v14, 23
	v_lshrrev_b32_e32 v4, 9, v4
	v_sub_u32_e32 v13, v15, v13
	v_or_b32_e32 v12, 0.5, v12
	v_lshlrev_b32_e32 v14, 23, v14
	v_or_b32_e32 v4, v13, v4
	v_lshrrev_b32_e32 v13, 9, v16
	v_sub_u32_e32 v12, v12, v14
	v_or_b32_e32 v12, v13, v12
	v_mul_f32_e32 v13, 0x3fc90fda, v12
	v_fma_f32 v14, v12, s26, -v13
	v_fmac_f32_e32 v14, 0x33a22168, v12
	v_fmac_f32_e32 v14, 0x3fc90fda, v4
	v_lshrrev_b32_e32 v12, 30, v17
	v_add_f32_e32 v4, v13, v14
	v_add_u32_e32 v12, v21, v12
.LBB10_13:                              ;   in Loop: Header=BB10_11 Depth=1
	s_andn2_saveexec_b64 s[0:1], s[6:7]
	s_cbranch_execz .LBB10_10
; %bb.14:                               ;   in Loop: Header=BB10_11 Depth=1
	v_mul_f32_e64 v4, |v10|, s27
	v_rndne_f32_e32 v13, v4
	v_cvt_i32_f32_e32 v12, v13
	v_fma_f32 v4, v13, s28, |v10|
	v_fmac_f32_e32 v4, 0xb3a22168, v13
	v_fmac_f32_e32 v4, 0xa7c234c4, v13
	s_branch .LBB10_10
.LBB10_15:
	v_mad_u64_u32 v[0:1], s[0:1], v0, s12, v[1:2]
	s_waitcnt lgkmcnt(0)
	v_mov_b32_e32 v4, s11
	v_ashrrev_i32_e32 v1, 31, v0
	v_lshlrev_b64 v[0:1], 3, v[0:1]
	v_add_co_u32_e32 v0, vcc, s10, v0
	v_addc_co_u32_e32 v1, vcc, v4, v1, vcc
	global_store_dwordx2 v[0:1], v[2:3], off
.LBB10_16:
	s_endpgm
	.section	.rodata,"a",@progbits
	.p2align	6, 0x0
	.amdhsa_kernel _Z10iDFT2D1gpuPN6thrust23THRUST_200600_302600_NS7complexIfEES3_ii
		.amdhsa_group_segment_fixed_size 0
		.amdhsa_private_segment_fixed_size 0
		.amdhsa_kernarg_size 280
		.amdhsa_user_sgpr_count 6
		.amdhsa_user_sgpr_private_segment_buffer 1
		.amdhsa_user_sgpr_dispatch_ptr 0
		.amdhsa_user_sgpr_queue_ptr 0
		.amdhsa_user_sgpr_kernarg_segment_ptr 1
		.amdhsa_user_sgpr_dispatch_id 0
		.amdhsa_user_sgpr_flat_scratch_init 0
		.amdhsa_user_sgpr_private_segment_size 0
		.amdhsa_uses_dynamic_stack 0
		.amdhsa_system_sgpr_private_segment_wavefront_offset 0
		.amdhsa_system_sgpr_workgroup_id_x 1
		.amdhsa_system_sgpr_workgroup_id_y 1
		.amdhsa_system_sgpr_workgroup_id_z 0
		.amdhsa_system_sgpr_workgroup_info 0
		.amdhsa_system_vgpr_workitem_id 1
		.amdhsa_next_free_vgpr 23
		.amdhsa_next_free_sgpr 30
		.amdhsa_reserve_vcc 1
		.amdhsa_reserve_flat_scratch 0
		.amdhsa_float_round_mode_32 0
		.amdhsa_float_round_mode_16_64 0
		.amdhsa_float_denorm_mode_32 3
		.amdhsa_float_denorm_mode_16_64 3
		.amdhsa_dx10_clamp 1
		.amdhsa_ieee_mode 1
		.amdhsa_fp16_overflow 0
		.amdhsa_exception_fp_ieee_invalid_op 0
		.amdhsa_exception_fp_denorm_src 0
		.amdhsa_exception_fp_ieee_div_zero 0
		.amdhsa_exception_fp_ieee_overflow 0
		.amdhsa_exception_fp_ieee_underflow 0
		.amdhsa_exception_fp_ieee_inexact 0
		.amdhsa_exception_int_div_zero 0
	.end_amdhsa_kernel
	.text
.Lfunc_end10:
	.size	_Z10iDFT2D1gpuPN6thrust23THRUST_200600_302600_NS7complexIfEES3_ii, .Lfunc_end10-_Z10iDFT2D1gpuPN6thrust23THRUST_200600_302600_NS7complexIfEES3_ii
                                        ; -- End function
	.set _Z10iDFT2D1gpuPN6thrust23THRUST_200600_302600_NS7complexIfEES3_ii.num_vgpr, 23
	.set _Z10iDFT2D1gpuPN6thrust23THRUST_200600_302600_NS7complexIfEES3_ii.num_agpr, 0
	.set _Z10iDFT2D1gpuPN6thrust23THRUST_200600_302600_NS7complexIfEES3_ii.numbered_sgpr, 30
	.set _Z10iDFT2D1gpuPN6thrust23THRUST_200600_302600_NS7complexIfEES3_ii.num_named_barrier, 0
	.set _Z10iDFT2D1gpuPN6thrust23THRUST_200600_302600_NS7complexIfEES3_ii.private_seg_size, 0
	.set _Z10iDFT2D1gpuPN6thrust23THRUST_200600_302600_NS7complexIfEES3_ii.uses_vcc, 1
	.set _Z10iDFT2D1gpuPN6thrust23THRUST_200600_302600_NS7complexIfEES3_ii.uses_flat_scratch, 0
	.set _Z10iDFT2D1gpuPN6thrust23THRUST_200600_302600_NS7complexIfEES3_ii.has_dyn_sized_stack, 0
	.set _Z10iDFT2D1gpuPN6thrust23THRUST_200600_302600_NS7complexIfEES3_ii.has_recursion, 0
	.set _Z10iDFT2D1gpuPN6thrust23THRUST_200600_302600_NS7complexIfEES3_ii.has_indirect_call, 0
	.section	.AMDGPU.csdata,"",@progbits
; Kernel info:
; codeLenInByte = 2436
; TotalNumSgprs: 34
; NumVgprs: 23
; ScratchSize: 0
; MemoryBound: 0
; FloatMode: 240
; IeeeMode: 1
; LDSByteSize: 0 bytes/workgroup (compile time only)
; SGPRBlocks: 4
; VGPRBlocks: 5
; NumSGPRsForWavesPerEU: 34
; NumVGPRsForWavesPerEU: 23
; Occupancy: 10
; WaveLimiterHint : 0
; COMPUTE_PGM_RSRC2:SCRATCH_EN: 0
; COMPUTE_PGM_RSRC2:USER_SGPR: 6
; COMPUTE_PGM_RSRC2:TRAP_HANDLER: 0
; COMPUTE_PGM_RSRC2:TGID_X_EN: 1
; COMPUTE_PGM_RSRC2:TGID_Y_EN: 1
; COMPUTE_PGM_RSRC2:TGID_Z_EN: 0
; COMPUTE_PGM_RSRC2:TIDIG_COMP_CNT: 1
	.text
	.protected	_Z10iDFT2D2gpuPN6thrust23THRUST_200600_302600_NS7complexIfEEPfii ; -- Begin function _Z10iDFT2D2gpuPN6thrust23THRUST_200600_302600_NS7complexIfEEPfii
	.globl	_Z10iDFT2D2gpuPN6thrust23THRUST_200600_302600_NS7complexIfEEPfii
	.p2align	8
	.type	_Z10iDFT2D2gpuPN6thrust23THRUST_200600_302600_NS7complexIfEEPfii,@function
_Z10iDFT2D2gpuPN6thrust23THRUST_200600_302600_NS7complexIfEEPfii: ; @_Z10iDFT2D2gpuPN6thrust23THRUST_200600_302600_NS7complexIfEEPfii
; %bb.0:
	s_load_dword s0, s[4:5], 0x24
	s_load_dwordx2 s[8:9], s[4:5], 0x10
	s_waitcnt lgkmcnt(0)
	s_lshr_b32 s1, s0, 16
	s_and_b32 s0, s0, 0xffff
	s_mul_i32 s7, s7, s1
	s_mul_i32 s6, s6, s0
	v_add_u32_e32 v1, s7, v1
	v_add_u32_e32 v0, s6, v0
	v_cmp_gt_i32_e32 vcc, s8, v1
	v_cmp_gt_i32_e64 s[0:1], s9, v0
	s_and_b64 s[0:1], vcc, s[0:1]
	s_and_saveexec_b64 s[2:3], s[0:1]
	s_cbranch_execz .LBB11_10
; %bb.1:
	s_load_dwordx4 s[4:7], s[4:5], 0x0
	s_cmp_lt_i32 s9, 1
	s_cbranch_scc1 .LBB11_8
; %bb.2:
	v_cvt_f32_i32_e32 v2, v0
	v_cvt_f32_i32_e32 v4, s9
	v_mov_b32_e32 v3, 0
	s_mov_b32 s12, 0
	s_brev_b32 s13, 18
	v_div_scale_f32 v5, s[0:1], v4, v4, v2
	v_div_scale_f32 v6, vcc, v2, v4, v2
	s_mov_b32 s14, 0xfe5163ab
	s_mov_b32 s15, 0x3c439041
	;; [unrolled: 1-line block ×10, first 2 shown]
	s_movk_i32 s24, 0x1f8
	v_mov_b32_e32 v10, 0x7fc00000
	v_rcp_f32_e32 v7, v5
	v_fma_f32 v8, -v5, v7, 1.0
	v_fmac_f32_e32 v7, v8, v7
	v_mul_f32_e32 v8, v6, v7
	v_fma_f32 v9, -v5, v8, v6
	v_fmac_f32_e32 v8, v9, v7
	v_fma_f32 v5, -v5, v8, v6
	v_div_fmas_f32 v11, v5, v7, v8
	v_mov_b32_e32 v5, 0xbe2aaa9d
	v_mov_b32_e32 v6, 0x3d2aabf7
	;; [unrolled: 1-line block ×3, first 2 shown]
	v_not_b32_e32 v8, 63
	v_not_b32_e32 v9, 31
	v_div_fixup_f32 v2, v11, v4, v2
	v_mul_f32_e32 v11, 0x40c90fdb, v2
	v_mov_b32_e32 v4, 0
	s_branch .LBB11_4
.LBB11_3:                               ;   in Loop: Header=BB11_4 Depth=1
	s_or_b64 exec, exec, s[0:1]
	v_mul_lo_u32 v15, v1, s9
	s_waitcnt lgkmcnt(0)
	v_mov_b32_e32 v17, s5
	v_mov_b32_e32 v18, 0x3c0881c4
	;; [unrolled: 1-line block ×3, first 2 shown]
	v_add_u32_e32 v15, s12, v15
	v_ashrrev_i32_e32 v16, 31, v15
	v_lshlrev_b64 v[15:16], 3, v[15:16]
	v_lshlrev_b32_e32 v20, 30, v14
	v_add_co_u32_e32 v15, vcc, s4, v15
	v_addc_co_u32_e32 v16, vcc, v17, v16, vcc
	global_load_dwordx2 v[15:16], v[15:16], off
	v_mul_f32_e32 v17, v2, v2
	v_fmac_f32_e32 v18, 0xb94c1982, v17
	v_fmac_f32_e32 v19, 0x37d75334, v17
	v_fma_f32 v18, v17, v18, v5
	v_fma_f32 v19, v17, v19, v6
	v_and_b32_e32 v14, 1, v14
	v_mul_f32_e32 v18, v17, v18
	v_fma_f32 v19, v17, v19, v7
	v_fmac_f32_e32 v2, v2, v18
	v_fma_f32 v17, v17, v19, 1.0
	v_cmp_eq_u32_e32 vcc, 0, v14
	v_xor_b32_e32 v13, v13, v12
	v_cndmask_b32_e32 v14, v17, v2, vcc
	v_and_b32_e32 v20, 0x80000000, v20
	v_xor_b32_e32 v2, 0x80000000, v2
	v_xor_b32_e32 v13, v13, v14
	v_cndmask_b32_e32 v2, v2, v17, vcc
	v_xor_b32_e32 v13, v13, v20
	v_cmp_class_f32_e64 vcc, v12, s24
	v_xor_b32_e32 v2, v2, v20
	v_cndmask_b32_e32 v12, v10, v13, vcc
	v_cndmask_b32_e32 v2, v10, v2, vcc
	s_add_i32 s12, s12, 1
	s_cmp_eq_u32 s9, s12
	s_waitcnt vmcnt(0)
	v_mul_f32_e32 v12, v16, v12
	v_fma_f32 v2, v15, v2, -v12
	v_add_f32_e32 v4, v4, v2
	s_cbranch_scc1 .LBB11_9
.LBB11_4:                               ; =>This Inner Loop Header: Depth=1
	v_cvt_f32_u32_e32 v2, s12
                                        ; implicit-def: $vgpr14
	v_mul_f32_e32 v12, v11, v2
	v_and_b32_e32 v13, 0x7fffffff, v12
	v_cmp_nlt_f32_e64 s[0:1], |v12|, s13
                                        ; implicit-def: $vgpr2
	s_and_saveexec_b64 s[2:3], s[0:1]
	s_xor_b64 s[10:11], exec, s[2:3]
	s_cbranch_execz .LBB11_6
; %bb.5:                                ;   in Loop: Header=BB11_4 Depth=1
	v_and_b32_e32 v2, 0x7fffff, v13
	v_or_b32_e32 v21, 0x800000, v2
	v_mad_u64_u32 v[14:15], s[0:1], v21, s14, 0
	v_mov_b32_e32 v2, v15
	v_mad_u64_u32 v[15:16], s[0:1], v21, s15, v[2:3]
	v_mov_b32_e32 v2, v16
	;; [unrolled: 2-line block ×3, first 2 shown]
	v_mad_u64_u32 v[17:18], s[0:1], v21, s17, v[2:3]
	v_lshrrev_b32_e32 v2, 23, v13
	v_add_u32_e32 v20, 0xffffff88, v2
	v_mov_b32_e32 v2, v18
	v_mad_u64_u32 v[18:19], s[0:1], v21, s18, v[2:3]
	v_cmp_lt_u32_e32 vcc, 63, v20
	v_cndmask_b32_e32 v2, 0, v8, vcc
	v_add_u32_e32 v22, v2, v20
	v_mov_b32_e32 v2, v19
	v_mad_u64_u32 v[19:20], s[0:1], v21, s19, v[2:3]
	v_cmp_lt_u32_e64 s[0:1], 31, v22
	v_cndmask_b32_e64 v2, 0, v9, s[0:1]
	v_add_u32_e32 v22, v2, v22
	v_mov_b32_e32 v2, v20
	v_mad_u64_u32 v[20:21], s[2:3], v21, s20, v[2:3]
	v_cndmask_b32_e32 v14, v16, v14, vcc
	v_cndmask_b32_e32 v2, v17, v15, vcc
	;; [unrolled: 1-line block ×6, first 2 shown]
	v_cmp_lt_u32_e32 vcc, 31, v22
	v_cndmask_b32_e32 v19, 0, v9, vcc
	v_add_u32_e32 v19, v19, v22
	v_cndmask_b32_e64 v20, v18, v16, s[0:1]
	v_cndmask_b32_e64 v17, v17, v18, s[0:1]
	;; [unrolled: 1-line block ×3, first 2 shown]
	v_cndmask_b32_e32 v17, v17, v20, vcc
	v_cndmask_b32_e32 v18, v20, v16, vcc
	v_sub_u32_e32 v20, 32, v19
	v_cndmask_b32_e64 v15, v15, v2, s[0:1]
	v_alignbit_b32 v21, v17, v18, v20
	v_cmp_eq_u32_e64 s[2:3], 0, v19
	v_cndmask_b32_e32 v16, v16, v15, vcc
	v_cndmask_b32_e64 v17, v21, v17, s[2:3]
	v_alignbit_b32 v19, v18, v16, v20
	v_cndmask_b32_e64 v18, v19, v18, s[2:3]
	v_cndmask_b32_e64 v2, v2, v14, s[0:1]
	v_bfe_u32 v14, v17, 29, 1
	v_alignbit_b32 v19, v17, v18, 30
	v_cndmask_b32_e32 v2, v15, v2, vcc
	v_sub_u32_e32 v15, 0, v14
	v_xor_b32_e32 v19, v19, v15
	v_alignbit_b32 v20, v16, v2, v20
	v_cndmask_b32_e64 v16, v20, v16, s[2:3]
	v_ffbh_u32_e32 v20, v19
	v_alignbit_b32 v18, v18, v16, 30
	v_min_u32_e32 v20, 32, v20
	v_alignbit_b32 v2, v16, v2, 30
	v_xor_b32_e32 v18, v18, v15
	v_sub_u32_e32 v16, 31, v20
	v_xor_b32_e32 v2, v2, v15
	v_alignbit_b32 v19, v19, v18, v16
	v_alignbit_b32 v2, v18, v2, v16
	;; [unrolled: 1-line block ×3, first 2 shown]
	v_ffbh_u32_e32 v16, v15
	v_min_u32_e32 v16, 32, v16
	v_not_b32_e32 v18, v16
	v_alignbit_b32 v2, v15, v2, v18
	v_lshrrev_b32_e32 v15, 29, v17
	v_lshlrev_b32_e32 v15, 31, v15
	v_or_b32_e32 v18, 0x33000000, v15
	v_add_lshl_u32 v16, v16, v20, 23
	v_lshrrev_b32_e32 v2, 9, v2
	v_sub_u32_e32 v16, v18, v16
	v_or_b32_e32 v15, 0.5, v15
	v_lshlrev_b32_e32 v18, 23, v20
	v_or_b32_e32 v2, v16, v2
	v_lshrrev_b32_e32 v16, 9, v19
	v_sub_u32_e32 v15, v15, v18
	v_or_b32_e32 v15, v16, v15
	v_mul_f32_e32 v16, 0x3fc90fda, v15
	v_fma_f32 v18, v15, s21, -v16
	v_fmac_f32_e32 v18, 0x33a22168, v15
	v_fmac_f32_e32 v18, 0x3fc90fda, v2
	v_lshrrev_b32_e32 v15, 30, v17
	v_add_f32_e32 v2, v16, v18
	v_add_u32_e32 v14, v14, v15
.LBB11_6:                               ;   in Loop: Header=BB11_4 Depth=1
	s_andn2_saveexec_b64 s[0:1], s[10:11]
	s_cbranch_execz .LBB11_3
; %bb.7:                                ;   in Loop: Header=BB11_4 Depth=1
	v_mul_f32_e64 v2, |v12|, s22
	v_rndne_f32_e32 v15, v2
	v_cvt_i32_f32_e32 v14, v15
	v_fma_f32 v2, v15, s23, |v12|
	v_fmac_f32_e32 v2, 0xb3a22168, v15
	v_fmac_f32_e32 v2, 0xa7c234c4, v15
	s_branch .LBB11_3
.LBB11_8:
	v_mov_b32_e32 v4, 0
.LBB11_9:
	v_mad_u64_u32 v[0:1], s[0:1], v0, s8, v[1:2]
	s_waitcnt lgkmcnt(0)
	v_mov_b32_e32 v2, s7
	v_ashrrev_i32_e32 v1, 31, v0
	v_lshlrev_b64 v[0:1], 2, v[0:1]
	v_add_co_u32_e32 v0, vcc, s6, v0
	v_addc_co_u32_e32 v1, vcc, v2, v1, vcc
	global_store_dword v[0:1], v4, off
.LBB11_10:
	s_endpgm
	.section	.rodata,"a",@progbits
	.p2align	6, 0x0
	.amdhsa_kernel _Z10iDFT2D2gpuPN6thrust23THRUST_200600_302600_NS7complexIfEEPfii
		.amdhsa_group_segment_fixed_size 0
		.amdhsa_private_segment_fixed_size 0
		.amdhsa_kernarg_size 280
		.amdhsa_user_sgpr_count 6
		.amdhsa_user_sgpr_private_segment_buffer 1
		.amdhsa_user_sgpr_dispatch_ptr 0
		.amdhsa_user_sgpr_queue_ptr 0
		.amdhsa_user_sgpr_kernarg_segment_ptr 1
		.amdhsa_user_sgpr_dispatch_id 0
		.amdhsa_user_sgpr_flat_scratch_init 0
		.amdhsa_user_sgpr_private_segment_size 0
		.amdhsa_uses_dynamic_stack 0
		.amdhsa_system_sgpr_private_segment_wavefront_offset 0
		.amdhsa_system_sgpr_workgroup_id_x 1
		.amdhsa_system_sgpr_workgroup_id_y 1
		.amdhsa_system_sgpr_workgroup_id_z 0
		.amdhsa_system_sgpr_workgroup_info 0
		.amdhsa_system_vgpr_workitem_id 1
		.amdhsa_next_free_vgpr 23
		.amdhsa_next_free_sgpr 25
		.amdhsa_reserve_vcc 1
		.amdhsa_reserve_flat_scratch 0
		.amdhsa_float_round_mode_32 0
		.amdhsa_float_round_mode_16_64 0
		.amdhsa_float_denorm_mode_32 3
		.amdhsa_float_denorm_mode_16_64 3
		.amdhsa_dx10_clamp 1
		.amdhsa_ieee_mode 1
		.amdhsa_fp16_overflow 0
		.amdhsa_exception_fp_ieee_invalid_op 0
		.amdhsa_exception_fp_denorm_src 0
		.amdhsa_exception_fp_ieee_div_zero 0
		.amdhsa_exception_fp_ieee_overflow 0
		.amdhsa_exception_fp_ieee_underflow 0
		.amdhsa_exception_fp_ieee_inexact 0
		.amdhsa_exception_int_div_zero 0
	.end_amdhsa_kernel
	.text
.Lfunc_end11:
	.size	_Z10iDFT2D2gpuPN6thrust23THRUST_200600_302600_NS7complexIfEEPfii, .Lfunc_end11-_Z10iDFT2D2gpuPN6thrust23THRUST_200600_302600_NS7complexIfEEPfii
                                        ; -- End function
	.set _Z10iDFT2D2gpuPN6thrust23THRUST_200600_302600_NS7complexIfEEPfii.num_vgpr, 23
	.set _Z10iDFT2D2gpuPN6thrust23THRUST_200600_302600_NS7complexIfEEPfii.num_agpr, 0
	.set _Z10iDFT2D2gpuPN6thrust23THRUST_200600_302600_NS7complexIfEEPfii.numbered_sgpr, 25
	.set _Z10iDFT2D2gpuPN6thrust23THRUST_200600_302600_NS7complexIfEEPfii.num_named_barrier, 0
	.set _Z10iDFT2D2gpuPN6thrust23THRUST_200600_302600_NS7complexIfEEPfii.private_seg_size, 0
	.set _Z10iDFT2D2gpuPN6thrust23THRUST_200600_302600_NS7complexIfEEPfii.uses_vcc, 1
	.set _Z10iDFT2D2gpuPN6thrust23THRUST_200600_302600_NS7complexIfEEPfii.uses_flat_scratch, 0
	.set _Z10iDFT2D2gpuPN6thrust23THRUST_200600_302600_NS7complexIfEEPfii.has_dyn_sized_stack, 0
	.set _Z10iDFT2D2gpuPN6thrust23THRUST_200600_302600_NS7complexIfEEPfii.has_recursion, 0
	.set _Z10iDFT2D2gpuPN6thrust23THRUST_200600_302600_NS7complexIfEEPfii.has_indirect_call, 0
	.section	.AMDGPU.csdata,"",@progbits
; Kernel info:
; codeLenInByte = 1184
; TotalNumSgprs: 29
; NumVgprs: 23
; ScratchSize: 0
; MemoryBound: 0
; FloatMode: 240
; IeeeMode: 1
; LDSByteSize: 0 bytes/workgroup (compile time only)
; SGPRBlocks: 3
; VGPRBlocks: 5
; NumSGPRsForWavesPerEU: 29
; NumVGPRsForWavesPerEU: 23
; Occupancy: 10
; WaveLimiterHint : 0
; COMPUTE_PGM_RSRC2:SCRATCH_EN: 0
; COMPUTE_PGM_RSRC2:USER_SGPR: 6
; COMPUTE_PGM_RSRC2:TRAP_HANDLER: 0
; COMPUTE_PGM_RSRC2:TGID_X_EN: 1
; COMPUTE_PGM_RSRC2:TGID_Y_EN: 1
; COMPUTE_PGM_RSRC2:TGID_Z_EN: 0
; COMPUTE_PGM_RSRC2:TIDIG_COMP_CNT: 1
	.section	.AMDGPU.gpr_maximums,"",@progbits
	.set amdgpu.max_num_vgpr, 0
	.set amdgpu.max_num_agpr, 0
	.set amdgpu.max_num_sgpr, 0
	.section	.AMDGPU.csdata,"",@progbits
	.type	__hip_cuid_69f0880f05b456c1,@object ; @__hip_cuid_69f0880f05b456c1
	.section	.bss,"aw",@nobits
	.globl	__hip_cuid_69f0880f05b456c1
__hip_cuid_69f0880f05b456c1:
	.byte	0                               ; 0x0
	.size	__hip_cuid_69f0880f05b456c1, 1

	.ident	"AMD clang version 22.0.0git (https://github.com/RadeonOpenCompute/llvm-project roc-7.2.4 26084 f58b06dce1f9c15707c5f808fd002e18c2accf7e)"
	.section	".note.GNU-stack","",@progbits
	.addrsig
	.addrsig_sym __hip_cuid_69f0880f05b456c1
	.amdgpu_metadata
---
amdhsa.kernels:
  - .args:
      - .address_space:  global
        .offset:         0
        .size:           8
        .value_kind:     global_buffer
      - .address_space:  global
        .offset:         8
        .size:           8
        .value_kind:     global_buffer
      - .offset:         16
        .size:           4
        .value_kind:     by_value
      - .offset:         20
        .size:           4
        .value_kind:     by_value
      - .offset:         24
        .size:           4
        .value_kind:     by_value
      - .offset:         32
        .size:           4
        .value_kind:     hidden_block_count_x
      - .offset:         36
        .size:           4
        .value_kind:     hidden_block_count_y
      - .offset:         40
        .size:           4
        .value_kind:     hidden_block_count_z
      - .offset:         44
        .size:           2
        .value_kind:     hidden_group_size_x
      - .offset:         46
        .size:           2
        .value_kind:     hidden_group_size_y
      - .offset:         48
        .size:           2
        .value_kind:     hidden_group_size_z
      - .offset:         50
        .size:           2
        .value_kind:     hidden_remainder_x
      - .offset:         52
        .size:           2
        .value_kind:     hidden_remainder_y
      - .offset:         54
        .size:           2
        .value_kind:     hidden_remainder_z
      - .offset:         72
        .size:           8
        .value_kind:     hidden_global_offset_x
      - .offset:         80
        .size:           8
        .value_kind:     hidden_global_offset_y
      - .offset:         88
        .size:           8
        .value_kind:     hidden_global_offset_z
      - .offset:         96
        .size:           2
        .value_kind:     hidden_grid_dims
    .group_segment_fixed_size: 0
    .kernarg_segment_align: 8
    .kernarg_segment_size: 288
    .language:       OpenCL C
    .language_version:
      - 2
      - 0
    .max_flat_workgroup_size: 1024
    .name:           _Z17copy_to_fft_inputPVfPKfiii
    .private_segment_fixed_size: 0
    .sgpr_count:     12
    .sgpr_spill_count: 0
    .symbol:         _Z17copy_to_fft_inputPVfPKfiii.kd
    .uniform_work_group_size: 1
    .uses_dynamic_stack: false
    .vgpr_count:     7
    .vgpr_spill_count: 0
    .wavefront_size: 64
  - .args:
      - .address_space:  global
        .offset:         0
        .size:           8
        .value_kind:     global_buffer
      - .address_space:  global
        .offset:         8
        .size:           8
        .value_kind:     global_buffer
      - .offset:         16
        .size:           4
        .value_kind:     by_value
      - .offset:         20
        .size:           4
        .value_kind:     by_value
      - .offset:         24
        .size:           4
        .value_kind:     by_value
      - .offset:         32
        .size:           4
        .value_kind:     hidden_block_count_x
      - .offset:         36
        .size:           4
        .value_kind:     hidden_block_count_y
      - .offset:         40
        .size:           4
        .value_kind:     hidden_block_count_z
      - .offset:         44
        .size:           2
        .value_kind:     hidden_group_size_x
      - .offset:         46
        .size:           2
        .value_kind:     hidden_group_size_y
      - .offset:         48
        .size:           2
        .value_kind:     hidden_group_size_z
      - .offset:         50
        .size:           2
        .value_kind:     hidden_remainder_x
      - .offset:         52
        .size:           2
        .value_kind:     hidden_remainder_y
      - .offset:         54
        .size:           2
        .value_kind:     hidden_remainder_z
      - .offset:         72
        .size:           8
        .value_kind:     hidden_global_offset_x
      - .offset:         80
        .size:           8
        .value_kind:     hidden_global_offset_y
      - .offset:         88
        .size:           8
        .value_kind:     hidden_global_offset_z
      - .offset:         96
        .size:           2
        .value_kind:     hidden_grid_dims
    .group_segment_fixed_size: 0
    .kernarg_segment_align: 8
    .kernarg_segment_size: 288
    .language:       OpenCL C
    .language_version:
      - 2
      - 0
    .max_flat_workgroup_size: 1024
    .name:           _Z20copy_from_fft_outputPVfPKfiii
    .private_segment_fixed_size: 0
    .sgpr_count:     13
    .sgpr_spill_count: 0
    .symbol:         _Z20copy_from_fft_outputPVfPKfiii.kd
    .uniform_work_group_size: 1
    .uses_dynamic_stack: false
    .vgpr_count:     9
    .vgpr_spill_count: 0
    .wavefront_size: 64
  - .args:
      - .address_space:  global
        .offset:         0
        .size:           8
        .value_kind:     global_buffer
      - .address_space:  global
        .offset:         8
        .size:           8
        .value_kind:     global_buffer
      - .address_space:  global
        .offset:         16
        .size:           8
        .value_kind:     global_buffer
      - .address_space:  global
        .offset:         24
        .size:           8
        .value_kind:     global_buffer
      - .address_space:  global
        .offset:         32
        .size:           8
        .value_kind:     global_buffer
      - .address_space:  global
        .offset:         40
        .size:           8
        .value_kind:     global_buffer
      - .offset:         48
        .size:           4
        .value_kind:     by_value
      - .offset:         52
        .size:           4
        .value_kind:     by_value
      - .offset:         56
        .size:           4
        .value_kind:     by_value
      - .offset:         60
        .size:           4
        .value_kind:     by_value
      - .offset:         64
        .size:           4
        .value_kind:     by_value
      - .offset:         72
        .size:           4
        .value_kind:     hidden_block_count_x
      - .offset:         76
        .size:           4
        .value_kind:     hidden_block_count_y
      - .offset:         80
        .size:           4
        .value_kind:     hidden_block_count_z
      - .offset:         84
        .size:           2
        .value_kind:     hidden_group_size_x
      - .offset:         86
        .size:           2
        .value_kind:     hidden_group_size_y
      - .offset:         88
        .size:           2
        .value_kind:     hidden_group_size_z
      - .offset:         90
        .size:           2
        .value_kind:     hidden_remainder_x
      - .offset:         92
        .size:           2
        .value_kind:     hidden_remainder_y
      - .offset:         94
        .size:           2
        .value_kind:     hidden_remainder_z
      - .offset:         112
        .size:           8
        .value_kind:     hidden_global_offset_x
      - .offset:         120
        .size:           8
        .value_kind:     hidden_global_offset_y
      - .offset:         128
        .size:           8
        .value_kind:     hidden_global_offset_z
      - .offset:         136
        .size:           2
        .value_kind:     hidden_grid_dims
    .group_segment_fixed_size: 0
    .kernarg_segment_align: 8
    .kernarg_segment_size: 328
    .language:       OpenCL C
    .language_version:
      - 2
      - 0
    .max_flat_workgroup_size: 1024
    .name:           _Z21compute_point_box_idxPViPVfS2_PKfS4_S4_ffiii
    .private_segment_fixed_size: 0
    .sgpr_count:     18
    .sgpr_spill_count: 0
    .symbol:         _Z21compute_point_box_idxPViPVfS2_PKfS4_S4_ffiii.kd
    .uniform_work_group_size: 1
    .uses_dynamic_stack: false
    .vgpr_count:     16
    .vgpr_spill_count: 0
    .wavefront_size: 64
  - .args:
      - .address_space:  global
        .offset:         0
        .size:           8
        .value_kind:     global_buffer
      - .address_space:  global
        .offset:         8
        .size:           8
        .value_kind:     global_buffer
      - .address_space:  global
        .offset:         16
        .size:           8
        .value_kind:     global_buffer
      - .address_space:  global
        .offset:         24
        .size:           8
        .value_kind:     global_buffer
      - .offset:         32
        .size:           4
        .value_kind:     by_value
      - .offset:         36
        .size:           4
        .value_kind:     by_value
      - .offset:         40
        .size:           4
        .value_kind:     hidden_block_count_x
      - .offset:         44
        .size:           4
        .value_kind:     hidden_block_count_y
      - .offset:         48
        .size:           4
        .value_kind:     hidden_block_count_z
      - .offset:         52
        .size:           2
        .value_kind:     hidden_group_size_x
      - .offset:         54
        .size:           2
        .value_kind:     hidden_group_size_y
      - .offset:         56
        .size:           2
        .value_kind:     hidden_group_size_z
      - .offset:         58
        .size:           2
        .value_kind:     hidden_remainder_x
      - .offset:         60
        .size:           2
        .value_kind:     hidden_remainder_y
      - .offset:         62
        .size:           2
        .value_kind:     hidden_remainder_z
      - .offset:         80
        .size:           8
        .value_kind:     hidden_global_offset_x
      - .offset:         88
        .size:           8
        .value_kind:     hidden_global_offset_y
      - .offset:         96
        .size:           8
        .value_kind:     hidden_global_offset_z
      - .offset:         104
        .size:           2
        .value_kind:     hidden_grid_dims
    .group_segment_fixed_size: 0
    .kernarg_segment_align: 8
    .kernarg_segment_size: 296
    .language:       OpenCL C
    .language_version:
      - 2
      - 0
    .max_flat_workgroup_size: 1024
    .name:           _Z18interpolate_devicePVfPKfS2_S2_ii
    .private_segment_fixed_size: 0
    .sgpr_count:     17
    .sgpr_spill_count: 0
    .symbol:         _Z18interpolate_devicePVfPKfS2_S2_ii.kd
    .uniform_work_group_size: 1
    .uses_dynamic_stack: false
    .vgpr_count:     8
    .vgpr_spill_count: 0
    .wavefront_size: 64
  - .args:
      - .address_space:  global
        .offset:         0
        .size:           8
        .value_kind:     global_buffer
      - .address_space:  global
        .offset:         8
        .size:           8
        .value_kind:     global_buffer
      - .address_space:  global
        .offset:         16
        .size:           8
        .value_kind:     global_buffer
      - .address_space:  global
        .offset:         24
        .size:           8
        .value_kind:     global_buffer
      - .address_space:  global
        .offset:         32
        .size:           8
        .value_kind:     global_buffer
      - .offset:         40
        .size:           4
        .value_kind:     by_value
      - .offset:         44
        .size:           4
        .value_kind:     by_value
      - .offset:         48
        .size:           4
        .value_kind:     by_value
      - .offset:         52
        .size:           4
        .value_kind:     by_value
      - .offset:         56
        .size:           4
        .value_kind:     hidden_block_count_x
      - .offset:         60
        .size:           4
        .value_kind:     hidden_block_count_y
      - .offset:         64
        .size:           4
        .value_kind:     hidden_block_count_z
      - .offset:         68
        .size:           2
        .value_kind:     hidden_group_size_x
      - .offset:         70
        .size:           2
        .value_kind:     hidden_group_size_y
      - .offset:         72
        .size:           2
        .value_kind:     hidden_group_size_z
      - .offset:         74
        .size:           2
        .value_kind:     hidden_remainder_x
      - .offset:         76
        .size:           2
        .value_kind:     hidden_remainder_y
      - .offset:         78
        .size:           2
        .value_kind:     hidden_remainder_z
      - .offset:         96
        .size:           8
        .value_kind:     hidden_global_offset_x
      - .offset:         104
        .size:           8
        .value_kind:     hidden_global_offset_y
      - .offset:         112
        .size:           8
        .value_kind:     hidden_global_offset_z
      - .offset:         120
        .size:           2
        .value_kind:     hidden_grid_dims
    .group_segment_fixed_size: 0
    .kernarg_segment_align: 8
    .kernarg_segment_size: 312
    .language:       OpenCL C
    .language_version:
      - 2
      - 0
    .max_flat_workgroup_size: 1024
    .name:           _Z28compute_interpolated_indicesPfPKiPKfS3_S3_iiii
    .private_segment_fixed_size: 0
    .sgpr_count:     20
    .sgpr_spill_count: 0
    .symbol:         _Z28compute_interpolated_indicesPfPKiPKfS3_S3_iiii.kd
    .uniform_work_group_size: 1
    .uses_dynamic_stack: false
    .vgpr_count:     17
    .vgpr_spill_count: 0
    .wavefront_size: 64
  - .args:
      - .address_space:  global
        .offset:         0
        .size:           8
        .value_kind:     global_buffer
      - .address_space:  global
        .offset:         8
        .size:           8
        .value_kind:     global_buffer
      - .address_space:  global
        .offset:         16
        .size:           8
        .value_kind:     global_buffer
      - .address_space:  global
        .offset:         24
        .size:           8
        .value_kind:     global_buffer
      - .address_space:  global
        .offset:         32
        .size:           8
        .value_kind:     global_buffer
      - .offset:         40
        .size:           4
        .value_kind:     by_value
      - .offset:         44
        .size:           4
        .value_kind:     by_value
      - .offset:         48
        .size:           4
        .value_kind:     by_value
      - .offset:         52
        .size:           4
        .value_kind:     by_value
      - .offset:         56
        .size:           4
        .value_kind:     hidden_block_count_x
      - .offset:         60
        .size:           4
        .value_kind:     hidden_block_count_y
      - .offset:         64
        .size:           4
        .value_kind:     hidden_block_count_z
      - .offset:         68
        .size:           2
        .value_kind:     hidden_group_size_x
      - .offset:         70
        .size:           2
        .value_kind:     hidden_group_size_y
      - .offset:         72
        .size:           2
        .value_kind:     hidden_group_size_z
      - .offset:         74
        .size:           2
        .value_kind:     hidden_remainder_x
      - .offset:         76
        .size:           2
        .value_kind:     hidden_remainder_y
      - .offset:         78
        .size:           2
        .value_kind:     hidden_remainder_z
      - .offset:         96
        .size:           8
        .value_kind:     hidden_global_offset_x
      - .offset:         104
        .size:           8
        .value_kind:     hidden_global_offset_y
      - .offset:         112
        .size:           8
        .value_kind:     hidden_global_offset_z
      - .offset:         120
        .size:           2
        .value_kind:     hidden_grid_dims
    .group_segment_fixed_size: 0
    .kernarg_segment_align: 8
    .kernarg_segment_size: 312
    .language:       OpenCL C
    .language_version:
      - 2
      - 0
    .max_flat_workgroup_size: 1024
    .name:           _Z25compute_potential_indicesPfPKiPKfS3_S3_iiii
    .private_segment_fixed_size: 0
    .sgpr_count:     20
    .sgpr_spill_count: 0
    .symbol:         _Z25compute_potential_indicesPfPKiPKfS3_S3_iiii.kd
    .uniform_work_group_size: 1
    .uses_dynamic_stack: false
    .vgpr_count:     18
    .vgpr_spill_count: 0
    .wavefront_size: 64
  - .args:
      - .address_space:  global
        .offset:         0
        .size:           8
        .value_kind:     global_buffer
      - .offset:         8
        .size:           4
        .value_kind:     by_value
      - .offset:         12
        .size:           4
        .value_kind:     by_value
      - .offset:         16
        .size:           4
        .value_kind:     by_value
      - .offset:         20
        .size:           4
        .value_kind:     by_value
      - .offset:         24
        .size:           4
        .value_kind:     by_value
      - .offset:         32
        .size:           4
        .value_kind:     hidden_block_count_x
      - .offset:         36
        .size:           4
        .value_kind:     hidden_block_count_y
      - .offset:         40
        .size:           4
        .value_kind:     hidden_block_count_z
      - .offset:         44
        .size:           2
        .value_kind:     hidden_group_size_x
      - .offset:         46
        .size:           2
        .value_kind:     hidden_group_size_y
      - .offset:         48
        .size:           2
        .value_kind:     hidden_group_size_z
      - .offset:         50
        .size:           2
        .value_kind:     hidden_remainder_x
      - .offset:         52
        .size:           2
        .value_kind:     hidden_remainder_y
      - .offset:         54
        .size:           2
        .value_kind:     hidden_remainder_z
      - .offset:         72
        .size:           8
        .value_kind:     hidden_global_offset_x
      - .offset:         80
        .size:           8
        .value_kind:     hidden_global_offset_y
      - .offset:         88
        .size:           8
        .value_kind:     hidden_global_offset_z
      - .offset:         96
        .size:           2
        .value_kind:     hidden_grid_dims
    .group_segment_fixed_size: 0
    .kernarg_segment_align: 8
    .kernarg_segment_size: 288
    .language:       OpenCL C
    .language_version:
      - 2
      - 0
    .max_flat_workgroup_size: 1024
    .name:           _Z20compute_kernel_tildePVffffii
    .private_segment_fixed_size: 0
    .sgpr_count:     17
    .sgpr_spill_count: 0
    .symbol:         _Z20compute_kernel_tildePVffffii.kd
    .uniform_work_group_size: 1
    .uses_dynamic_stack: false
    .vgpr_count:     14
    .vgpr_spill_count: 0
    .wavefront_size: 64
  - .args:
      - .address_space:  global
        .offset:         0
        .size:           8
        .value_kind:     global_buffer
      - .address_space:  global
        .offset:         8
        .size:           8
        .value_kind:     global_buffer
      - .offset:         16
        .size:           4
        .value_kind:     by_value
      - .offset:         20
        .size:           4
        .value_kind:     by_value
      - .offset:         24
        .size:           4
        .value_kind:     by_value
      - .offset:         28
        .size:           4
        .value_kind:     by_value
      - .offset:         32
        .size:           4
        .value_kind:     by_value
      - .offset:         40
        .size:           4
        .value_kind:     hidden_block_count_x
      - .offset:         44
        .size:           4
        .value_kind:     hidden_block_count_y
      - .offset:         48
        .size:           4
        .value_kind:     hidden_block_count_z
      - .offset:         52
        .size:           2
        .value_kind:     hidden_group_size_x
      - .offset:         54
        .size:           2
        .value_kind:     hidden_group_size_y
      - .offset:         56
        .size:           2
        .value_kind:     hidden_group_size_z
      - .offset:         58
        .size:           2
        .value_kind:     hidden_remainder_x
      - .offset:         60
        .size:           2
        .value_kind:     hidden_remainder_y
      - .offset:         62
        .size:           2
        .value_kind:     hidden_remainder_z
      - .offset:         80
        .size:           8
        .value_kind:     hidden_global_offset_x
      - .offset:         88
        .size:           8
        .value_kind:     hidden_global_offset_y
      - .offset:         96
        .size:           8
        .value_kind:     hidden_global_offset_z
      - .offset:         104
        .size:           2
        .value_kind:     hidden_grid_dims
    .group_segment_fixed_size: 0
    .kernarg_segment_align: 8
    .kernarg_segment_size: 296
    .language:       OpenCL C
    .language_version:
      - 2
      - 0
    .max_flat_workgroup_size: 1024
    .name:           _Z30compute_upper_and_lower_boundsPVfS0_fffii
    .private_segment_fixed_size: 0
    .sgpr_count:     16
    .sgpr_spill_count: 0
    .symbol:         _Z30compute_upper_and_lower_boundsPVfS0_fffii.kd
    .uniform_work_group_size: 1
    .uses_dynamic_stack: false
    .vgpr_count:     11
    .vgpr_spill_count: 0
    .wavefront_size: 64
  - .args:
      - .address_space:  global
        .offset:         0
        .size:           8
        .value_kind:     global_buffer
      - .address_space:  global
        .offset:         8
        .size:           8
        .value_kind:     global_buffer
      - .offset:         16
        .size:           4
        .value_kind:     by_value
      - .offset:         20
        .size:           4
        .value_kind:     by_value
      - .offset:         24
        .size:           4
        .value_kind:     hidden_block_count_x
      - .offset:         28
        .size:           4
        .value_kind:     hidden_block_count_y
      - .offset:         32
        .size:           4
        .value_kind:     hidden_block_count_z
      - .offset:         36
        .size:           2
        .value_kind:     hidden_group_size_x
      - .offset:         38
        .size:           2
        .value_kind:     hidden_group_size_y
      - .offset:         40
        .size:           2
        .value_kind:     hidden_group_size_z
      - .offset:         42
        .size:           2
        .value_kind:     hidden_remainder_x
      - .offset:         44
        .size:           2
        .value_kind:     hidden_remainder_y
      - .offset:         46
        .size:           2
        .value_kind:     hidden_remainder_z
      - .offset:         64
        .size:           8
        .value_kind:     hidden_global_offset_x
      - .offset:         72
        .size:           8
        .value_kind:     hidden_global_offset_y
      - .offset:         80
        .size:           8
        .value_kind:     hidden_global_offset_z
      - .offset:         88
        .size:           2
        .value_kind:     hidden_grid_dims
    .group_segment_fixed_size: 0
    .kernarg_segment_align: 8
    .kernarg_segment_size: 280
    .language:       OpenCL C
    .language_version:
      - 2
      - 0
    .max_flat_workgroup_size: 1024
    .name:           _Z9DFT2D1gpuPfPN6thrust23THRUST_200600_302600_NS7complexIfEEii
    .private_segment_fixed_size: 0
    .sgpr_count:     29
    .sgpr_spill_count: 0
    .symbol:         _Z9DFT2D1gpuPfPN6thrust23THRUST_200600_302600_NS7complexIfEEii.kd
    .uniform_work_group_size: 1
    .uses_dynamic_stack: false
    .vgpr_count:     23
    .vgpr_spill_count: 0
    .wavefront_size: 64
  - .args:
      - .address_space:  global
        .offset:         0
        .size:           8
        .value_kind:     global_buffer
      - .address_space:  global
        .offset:         8
        .size:           8
        .value_kind:     global_buffer
      - .offset:         16
        .size:           4
        .value_kind:     by_value
      - .offset:         20
        .size:           4
        .value_kind:     by_value
      - .offset:         24
        .size:           4
        .value_kind:     hidden_block_count_x
      - .offset:         28
        .size:           4
        .value_kind:     hidden_block_count_y
      - .offset:         32
        .size:           4
        .value_kind:     hidden_block_count_z
      - .offset:         36
        .size:           2
        .value_kind:     hidden_group_size_x
      - .offset:         38
        .size:           2
        .value_kind:     hidden_group_size_y
      - .offset:         40
        .size:           2
        .value_kind:     hidden_group_size_z
      - .offset:         42
        .size:           2
        .value_kind:     hidden_remainder_x
      - .offset:         44
        .size:           2
        .value_kind:     hidden_remainder_y
      - .offset:         46
        .size:           2
        .value_kind:     hidden_remainder_z
      - .offset:         64
        .size:           8
        .value_kind:     hidden_global_offset_x
      - .offset:         72
        .size:           8
        .value_kind:     hidden_global_offset_y
      - .offset:         80
        .size:           8
        .value_kind:     hidden_global_offset_z
      - .offset:         88
        .size:           2
        .value_kind:     hidden_grid_dims
    .group_segment_fixed_size: 0
    .kernarg_segment_align: 8
    .kernarg_segment_size: 280
    .language:       OpenCL C
    .language_version:
      - 2
      - 0
    .max_flat_workgroup_size: 1024
    .name:           _Z9DFT2D2gpuPN6thrust23THRUST_200600_302600_NS7complexIfEES3_ii
    .private_segment_fixed_size: 0
    .sgpr_count:     29
    .sgpr_spill_count: 0
    .symbol:         _Z9DFT2D2gpuPN6thrust23THRUST_200600_302600_NS7complexIfEES3_ii.kd
    .uniform_work_group_size: 1
    .uses_dynamic_stack: false
    .vgpr_count:     23
    .vgpr_spill_count: 0
    .wavefront_size: 64
  - .args:
      - .address_space:  global
        .offset:         0
        .size:           8
        .value_kind:     global_buffer
      - .address_space:  global
        .offset:         8
        .size:           8
        .value_kind:     global_buffer
      - .offset:         16
        .size:           4
        .value_kind:     by_value
      - .offset:         20
        .size:           4
        .value_kind:     by_value
      - .offset:         24
        .size:           4
        .value_kind:     hidden_block_count_x
      - .offset:         28
        .size:           4
        .value_kind:     hidden_block_count_y
      - .offset:         32
        .size:           4
        .value_kind:     hidden_block_count_z
      - .offset:         36
        .size:           2
        .value_kind:     hidden_group_size_x
      - .offset:         38
        .size:           2
        .value_kind:     hidden_group_size_y
      - .offset:         40
        .size:           2
        .value_kind:     hidden_group_size_z
      - .offset:         42
        .size:           2
        .value_kind:     hidden_remainder_x
      - .offset:         44
        .size:           2
        .value_kind:     hidden_remainder_y
      - .offset:         46
        .size:           2
        .value_kind:     hidden_remainder_z
      - .offset:         64
        .size:           8
        .value_kind:     hidden_global_offset_x
      - .offset:         72
        .size:           8
        .value_kind:     hidden_global_offset_y
      - .offset:         80
        .size:           8
        .value_kind:     hidden_global_offset_z
      - .offset:         88
        .size:           2
        .value_kind:     hidden_grid_dims
    .group_segment_fixed_size: 0
    .kernarg_segment_align: 8
    .kernarg_segment_size: 280
    .language:       OpenCL C
    .language_version:
      - 2
      - 0
    .max_flat_workgroup_size: 1024
    .name:           _Z10iDFT2D1gpuPN6thrust23THRUST_200600_302600_NS7complexIfEES3_ii
    .private_segment_fixed_size: 0
    .sgpr_count:     34
    .sgpr_spill_count: 0
    .symbol:         _Z10iDFT2D1gpuPN6thrust23THRUST_200600_302600_NS7complexIfEES3_ii.kd
    .uniform_work_group_size: 1
    .uses_dynamic_stack: false
    .vgpr_count:     23
    .vgpr_spill_count: 0
    .wavefront_size: 64
  - .args:
      - .address_space:  global
        .offset:         0
        .size:           8
        .value_kind:     global_buffer
      - .address_space:  global
        .offset:         8
        .size:           8
        .value_kind:     global_buffer
      - .offset:         16
        .size:           4
        .value_kind:     by_value
      - .offset:         20
        .size:           4
        .value_kind:     by_value
      - .offset:         24
        .size:           4
        .value_kind:     hidden_block_count_x
      - .offset:         28
        .size:           4
        .value_kind:     hidden_block_count_y
      - .offset:         32
        .size:           4
        .value_kind:     hidden_block_count_z
      - .offset:         36
        .size:           2
        .value_kind:     hidden_group_size_x
      - .offset:         38
        .size:           2
        .value_kind:     hidden_group_size_y
      - .offset:         40
        .size:           2
        .value_kind:     hidden_group_size_z
      - .offset:         42
        .size:           2
        .value_kind:     hidden_remainder_x
      - .offset:         44
        .size:           2
        .value_kind:     hidden_remainder_y
      - .offset:         46
        .size:           2
        .value_kind:     hidden_remainder_z
      - .offset:         64
        .size:           8
        .value_kind:     hidden_global_offset_x
      - .offset:         72
        .size:           8
        .value_kind:     hidden_global_offset_y
      - .offset:         80
        .size:           8
        .value_kind:     hidden_global_offset_z
      - .offset:         88
        .size:           2
        .value_kind:     hidden_grid_dims
    .group_segment_fixed_size: 0
    .kernarg_segment_align: 8
    .kernarg_segment_size: 280
    .language:       OpenCL C
    .language_version:
      - 2
      - 0
    .max_flat_workgroup_size: 1024
    .name:           _Z10iDFT2D2gpuPN6thrust23THRUST_200600_302600_NS7complexIfEEPfii
    .private_segment_fixed_size: 0
    .sgpr_count:     29
    .sgpr_spill_count: 0
    .symbol:         _Z10iDFT2D2gpuPN6thrust23THRUST_200600_302600_NS7complexIfEEPfii.kd
    .uniform_work_group_size: 1
    .uses_dynamic_stack: false
    .vgpr_count:     23
    .vgpr_spill_count: 0
    .wavefront_size: 64
amdhsa.target:   amdgcn-amd-amdhsa--gfx906
amdhsa.version:
  - 1
  - 2
...

	.end_amdgpu_metadata
